;; amdgpu-corpus repo=ROCm/rocFFT kind=compiled arch=gfx1100 opt=O3
	.text
	.amdgcn_target "amdgcn-amd-amdhsa--gfx1100"
	.amdhsa_code_object_version 6
	.protected	fft_rtc_fwd_len2880_factors_10_6_6_2_2_2_wgs_96_tpt_96_halfLds_dp_ip_CI_unitstride_sbrr_C2R_dirReg ; -- Begin function fft_rtc_fwd_len2880_factors_10_6_6_2_2_2_wgs_96_tpt_96_halfLds_dp_ip_CI_unitstride_sbrr_C2R_dirReg
	.globl	fft_rtc_fwd_len2880_factors_10_6_6_2_2_2_wgs_96_tpt_96_halfLds_dp_ip_CI_unitstride_sbrr_C2R_dirReg
	.p2align	8
	.type	fft_rtc_fwd_len2880_factors_10_6_6_2_2_2_wgs_96_tpt_96_halfLds_dp_ip_CI_unitstride_sbrr_C2R_dirReg,@function
fft_rtc_fwd_len2880_factors_10_6_6_2_2_2_wgs_96_tpt_96_halfLds_dp_ip_CI_unitstride_sbrr_C2R_dirReg: ; @fft_rtc_fwd_len2880_factors_10_6_6_2_2_2_wgs_96_tpt_96_halfLds_dp_ip_CI_unitstride_sbrr_C2R_dirReg
; %bb.0:
	s_clause 0x2
	s_load_b128 s[4:7], s[0:1], 0x0
	s_load_b64 s[8:9], s[0:1], 0x50
	s_load_b64 s[10:11], s[0:1], 0x18
	v_mul_u32_u24_e32 v1, 0x2ab, v0
	v_mov_b32_e32 v3, 0
	v_mov_b32_e32 v4, 0
	s_delay_alu instid0(VALU_DEP_3) | instskip(SKIP_1) | instid1(VALU_DEP_1)
	v_lshrrev_b32_e32 v2, 16, v1
	v_mov_b32_e32 v1, 0
	v_dual_mov_b32 v6, v1 :: v_dual_add_nc_u32 v5, s15, v2
	s_waitcnt lgkmcnt(0)
	v_cmp_lt_u64_e64 s2, s[6:7], 2
	s_delay_alu instid0(VALU_DEP_1)
	s_and_b32 vcc_lo, exec_lo, s2
	s_cbranch_vccnz .LBB0_8
; %bb.1:
	s_load_b64 s[2:3], s[0:1], 0x10
	v_mov_b32_e32 v3, 0
	s_add_u32 s12, s10, 8
	v_mov_b32_e32 v4, 0
	s_addc_u32 s13, s11, 0
	s_mov_b64 s[16:17], 1
	s_waitcnt lgkmcnt(0)
	s_add_u32 s14, s2, 8
	s_addc_u32 s15, s3, 0
.LBB0_2:                                ; =>This Inner Loop Header: Depth=1
	s_load_b64 s[18:19], s[14:15], 0x0
                                        ; implicit-def: $vgpr7_vgpr8
	s_mov_b32 s2, exec_lo
	s_waitcnt lgkmcnt(0)
	v_or_b32_e32 v2, s19, v6
	s_delay_alu instid0(VALU_DEP_1)
	v_cmpx_ne_u64_e32 0, v[1:2]
	s_xor_b32 s3, exec_lo, s2
	s_cbranch_execz .LBB0_4
; %bb.3:                                ;   in Loop: Header=BB0_2 Depth=1
	v_cvt_f32_u32_e32 v2, s18
	v_cvt_f32_u32_e32 v7, s19
	s_sub_u32 s2, 0, s18
	s_subb_u32 s20, 0, s19
	s_delay_alu instid0(VALU_DEP_1) | instskip(NEXT) | instid1(VALU_DEP_1)
	v_fmac_f32_e32 v2, 0x4f800000, v7
	v_rcp_f32_e32 v2, v2
	s_waitcnt_depctr 0xfff
	v_mul_f32_e32 v2, 0x5f7ffffc, v2
	s_delay_alu instid0(VALU_DEP_1) | instskip(NEXT) | instid1(VALU_DEP_1)
	v_mul_f32_e32 v7, 0x2f800000, v2
	v_trunc_f32_e32 v7, v7
	s_delay_alu instid0(VALU_DEP_1) | instskip(SKIP_1) | instid1(VALU_DEP_2)
	v_fmac_f32_e32 v2, 0xcf800000, v7
	v_cvt_u32_f32_e32 v7, v7
	v_cvt_u32_f32_e32 v2, v2
	s_delay_alu instid0(VALU_DEP_2) | instskip(NEXT) | instid1(VALU_DEP_2)
	v_mul_lo_u32 v8, s2, v7
	v_mul_hi_u32 v9, s2, v2
	v_mul_lo_u32 v10, s20, v2
	s_delay_alu instid0(VALU_DEP_2) | instskip(SKIP_1) | instid1(VALU_DEP_2)
	v_add_nc_u32_e32 v8, v9, v8
	v_mul_lo_u32 v9, s2, v2
	v_add_nc_u32_e32 v8, v8, v10
	s_delay_alu instid0(VALU_DEP_2) | instskip(NEXT) | instid1(VALU_DEP_2)
	v_mul_hi_u32 v10, v2, v9
	v_mul_lo_u32 v11, v2, v8
	v_mul_hi_u32 v12, v2, v8
	v_mul_hi_u32 v13, v7, v9
	v_mul_lo_u32 v9, v7, v9
	v_mul_hi_u32 v14, v7, v8
	v_mul_lo_u32 v8, v7, v8
	v_add_co_u32 v10, vcc_lo, v10, v11
	v_add_co_ci_u32_e32 v11, vcc_lo, 0, v12, vcc_lo
	s_delay_alu instid0(VALU_DEP_2) | instskip(NEXT) | instid1(VALU_DEP_2)
	v_add_co_u32 v9, vcc_lo, v10, v9
	v_add_co_ci_u32_e32 v9, vcc_lo, v11, v13, vcc_lo
	v_add_co_ci_u32_e32 v10, vcc_lo, 0, v14, vcc_lo
	s_delay_alu instid0(VALU_DEP_2) | instskip(NEXT) | instid1(VALU_DEP_2)
	v_add_co_u32 v8, vcc_lo, v9, v8
	v_add_co_ci_u32_e32 v9, vcc_lo, 0, v10, vcc_lo
	s_delay_alu instid0(VALU_DEP_2) | instskip(NEXT) | instid1(VALU_DEP_2)
	v_add_co_u32 v2, vcc_lo, v2, v8
	v_add_co_ci_u32_e32 v7, vcc_lo, v7, v9, vcc_lo
	s_delay_alu instid0(VALU_DEP_2) | instskip(SKIP_1) | instid1(VALU_DEP_3)
	v_mul_hi_u32 v8, s2, v2
	v_mul_lo_u32 v10, s20, v2
	v_mul_lo_u32 v9, s2, v7
	s_delay_alu instid0(VALU_DEP_1) | instskip(SKIP_1) | instid1(VALU_DEP_2)
	v_add_nc_u32_e32 v8, v8, v9
	v_mul_lo_u32 v9, s2, v2
	v_add_nc_u32_e32 v8, v8, v10
	s_delay_alu instid0(VALU_DEP_2) | instskip(NEXT) | instid1(VALU_DEP_2)
	v_mul_hi_u32 v10, v2, v9
	v_mul_lo_u32 v11, v2, v8
	v_mul_hi_u32 v12, v2, v8
	v_mul_hi_u32 v13, v7, v9
	v_mul_lo_u32 v9, v7, v9
	v_mul_hi_u32 v14, v7, v8
	v_mul_lo_u32 v8, v7, v8
	v_add_co_u32 v10, vcc_lo, v10, v11
	v_add_co_ci_u32_e32 v11, vcc_lo, 0, v12, vcc_lo
	s_delay_alu instid0(VALU_DEP_2) | instskip(NEXT) | instid1(VALU_DEP_2)
	v_add_co_u32 v9, vcc_lo, v10, v9
	v_add_co_ci_u32_e32 v9, vcc_lo, v11, v13, vcc_lo
	v_add_co_ci_u32_e32 v10, vcc_lo, 0, v14, vcc_lo
	s_delay_alu instid0(VALU_DEP_2) | instskip(NEXT) | instid1(VALU_DEP_2)
	v_add_co_u32 v8, vcc_lo, v9, v8
	v_add_co_ci_u32_e32 v9, vcc_lo, 0, v10, vcc_lo
	s_delay_alu instid0(VALU_DEP_2) | instskip(NEXT) | instid1(VALU_DEP_2)
	v_add_co_u32 v2, vcc_lo, v2, v8
	v_add_co_ci_u32_e32 v13, vcc_lo, v7, v9, vcc_lo
	s_delay_alu instid0(VALU_DEP_2) | instskip(SKIP_1) | instid1(VALU_DEP_3)
	v_mul_hi_u32 v14, v5, v2
	v_mad_u64_u32 v[9:10], null, v6, v2, 0
	v_mad_u64_u32 v[7:8], null, v5, v13, 0
	;; [unrolled: 1-line block ×3, first 2 shown]
	s_delay_alu instid0(VALU_DEP_2) | instskip(NEXT) | instid1(VALU_DEP_3)
	v_add_co_u32 v2, vcc_lo, v14, v7
	v_add_co_ci_u32_e32 v7, vcc_lo, 0, v8, vcc_lo
	s_delay_alu instid0(VALU_DEP_2) | instskip(NEXT) | instid1(VALU_DEP_2)
	v_add_co_u32 v2, vcc_lo, v2, v9
	v_add_co_ci_u32_e32 v2, vcc_lo, v7, v10, vcc_lo
	v_add_co_ci_u32_e32 v7, vcc_lo, 0, v12, vcc_lo
	s_delay_alu instid0(VALU_DEP_2) | instskip(NEXT) | instid1(VALU_DEP_2)
	v_add_co_u32 v2, vcc_lo, v2, v11
	v_add_co_ci_u32_e32 v9, vcc_lo, 0, v7, vcc_lo
	s_delay_alu instid0(VALU_DEP_2) | instskip(SKIP_1) | instid1(VALU_DEP_3)
	v_mul_lo_u32 v10, s19, v2
	v_mad_u64_u32 v[7:8], null, s18, v2, 0
	v_mul_lo_u32 v11, s18, v9
	s_delay_alu instid0(VALU_DEP_2) | instskip(NEXT) | instid1(VALU_DEP_2)
	v_sub_co_u32 v7, vcc_lo, v5, v7
	v_add3_u32 v8, v8, v11, v10
	s_delay_alu instid0(VALU_DEP_1) | instskip(NEXT) | instid1(VALU_DEP_1)
	v_sub_nc_u32_e32 v10, v6, v8
	v_subrev_co_ci_u32_e64 v10, s2, s19, v10, vcc_lo
	v_add_co_u32 v11, s2, v2, 2
	s_delay_alu instid0(VALU_DEP_1) | instskip(SKIP_3) | instid1(VALU_DEP_3)
	v_add_co_ci_u32_e64 v12, s2, 0, v9, s2
	v_sub_co_u32 v13, s2, v7, s18
	v_sub_co_ci_u32_e32 v8, vcc_lo, v6, v8, vcc_lo
	v_subrev_co_ci_u32_e64 v10, s2, 0, v10, s2
	v_cmp_le_u32_e32 vcc_lo, s18, v13
	s_delay_alu instid0(VALU_DEP_3) | instskip(SKIP_1) | instid1(VALU_DEP_4)
	v_cmp_eq_u32_e64 s2, s19, v8
	v_cndmask_b32_e64 v13, 0, -1, vcc_lo
	v_cmp_le_u32_e32 vcc_lo, s19, v10
	v_cndmask_b32_e64 v14, 0, -1, vcc_lo
	v_cmp_le_u32_e32 vcc_lo, s18, v7
	;; [unrolled: 2-line block ×3, first 2 shown]
	v_cndmask_b32_e64 v15, 0, -1, vcc_lo
	v_cmp_eq_u32_e32 vcc_lo, s19, v10
	s_delay_alu instid0(VALU_DEP_2) | instskip(SKIP_3) | instid1(VALU_DEP_3)
	v_cndmask_b32_e64 v7, v15, v7, s2
	v_cndmask_b32_e32 v10, v14, v13, vcc_lo
	v_add_co_u32 v13, vcc_lo, v2, 1
	v_add_co_ci_u32_e32 v14, vcc_lo, 0, v9, vcc_lo
	v_cmp_ne_u32_e32 vcc_lo, 0, v10
	s_delay_alu instid0(VALU_DEP_2) | instskip(NEXT) | instid1(VALU_DEP_4)
	v_cndmask_b32_e32 v8, v14, v12, vcc_lo
	v_cndmask_b32_e32 v10, v13, v11, vcc_lo
	v_cmp_ne_u32_e32 vcc_lo, 0, v7
	s_delay_alu instid0(VALU_DEP_2)
	v_dual_cndmask_b32 v7, v2, v10 :: v_dual_cndmask_b32 v8, v9, v8
.LBB0_4:                                ;   in Loop: Header=BB0_2 Depth=1
	s_and_not1_saveexec_b32 s2, s3
	s_cbranch_execz .LBB0_6
; %bb.5:                                ;   in Loop: Header=BB0_2 Depth=1
	v_cvt_f32_u32_e32 v2, s18
	s_sub_i32 s3, 0, s18
	s_delay_alu instid0(VALU_DEP_1) | instskip(SKIP_2) | instid1(VALU_DEP_1)
	v_rcp_iflag_f32_e32 v2, v2
	s_waitcnt_depctr 0xfff
	v_mul_f32_e32 v2, 0x4f7ffffe, v2
	v_cvt_u32_f32_e32 v2, v2
	s_delay_alu instid0(VALU_DEP_1) | instskip(NEXT) | instid1(VALU_DEP_1)
	v_mul_lo_u32 v7, s3, v2
	v_mul_hi_u32 v7, v2, v7
	s_delay_alu instid0(VALU_DEP_1) | instskip(NEXT) | instid1(VALU_DEP_1)
	v_add_nc_u32_e32 v2, v2, v7
	v_mul_hi_u32 v2, v5, v2
	s_delay_alu instid0(VALU_DEP_1) | instskip(SKIP_1) | instid1(VALU_DEP_2)
	v_mul_lo_u32 v7, v2, s18
	v_add_nc_u32_e32 v8, 1, v2
	v_sub_nc_u32_e32 v7, v5, v7
	s_delay_alu instid0(VALU_DEP_1) | instskip(SKIP_1) | instid1(VALU_DEP_2)
	v_subrev_nc_u32_e32 v9, s18, v7
	v_cmp_le_u32_e32 vcc_lo, s18, v7
	v_dual_cndmask_b32 v7, v7, v9 :: v_dual_cndmask_b32 v2, v2, v8
	s_delay_alu instid0(VALU_DEP_1) | instskip(NEXT) | instid1(VALU_DEP_2)
	v_cmp_le_u32_e32 vcc_lo, s18, v7
	v_add_nc_u32_e32 v8, 1, v2
	s_delay_alu instid0(VALU_DEP_1)
	v_dual_cndmask_b32 v7, v2, v8 :: v_dual_mov_b32 v8, v1
.LBB0_6:                                ;   in Loop: Header=BB0_2 Depth=1
	s_or_b32 exec_lo, exec_lo, s2
	s_load_b64 s[2:3], s[12:13], 0x0
	s_delay_alu instid0(VALU_DEP_1) | instskip(NEXT) | instid1(VALU_DEP_2)
	v_mul_lo_u32 v2, v8, s18
	v_mul_lo_u32 v11, v7, s19
	v_mad_u64_u32 v[9:10], null, v7, s18, 0
	s_add_u32 s16, s16, 1
	s_addc_u32 s17, s17, 0
	s_add_u32 s12, s12, 8
	s_addc_u32 s13, s13, 0
	;; [unrolled: 2-line block ×3, first 2 shown]
	s_delay_alu instid0(VALU_DEP_1) | instskip(SKIP_1) | instid1(VALU_DEP_2)
	v_add3_u32 v2, v10, v11, v2
	v_sub_co_u32 v9, vcc_lo, v5, v9
	v_sub_co_ci_u32_e32 v2, vcc_lo, v6, v2, vcc_lo
	s_waitcnt lgkmcnt(0)
	s_delay_alu instid0(VALU_DEP_2) | instskip(NEXT) | instid1(VALU_DEP_2)
	v_mul_lo_u32 v10, s3, v9
	v_mul_lo_u32 v2, s2, v2
	v_mad_u64_u32 v[5:6], null, s2, v9, v[3:4]
	v_cmp_ge_u64_e64 s2, s[16:17], s[6:7]
	s_delay_alu instid0(VALU_DEP_1) | instskip(NEXT) | instid1(VALU_DEP_2)
	s_and_b32 vcc_lo, exec_lo, s2
	v_add3_u32 v4, v10, v6, v2
	s_delay_alu instid0(VALU_DEP_3)
	v_mov_b32_e32 v3, v5
	s_cbranch_vccnz .LBB0_9
; %bb.7:                                ;   in Loop: Header=BB0_2 Depth=1
	v_dual_mov_b32 v5, v7 :: v_dual_mov_b32 v6, v8
	s_branch .LBB0_2
.LBB0_8:
	v_dual_mov_b32 v8, v6 :: v_dual_mov_b32 v7, v5
.LBB0_9:
	s_lshl_b64 s[2:3], s[6:7], 3
	v_mul_hi_u32 v5, 0x2aaaaab, v0
	s_add_u32 s2, s10, s2
	s_addc_u32 s3, s11, s3
	s_load_b64 s[2:3], s[2:3], 0x0
	s_load_b64 s[0:1], s[0:1], 0x20
	s_waitcnt lgkmcnt(0)
	v_mul_lo_u32 v6, s2, v8
	v_mul_lo_u32 v9, s3, v7
	v_mad_u64_u32 v[1:2], null, s2, v7, v[3:4]
	v_mul_u32_u24_e32 v3, 0x60, v5
	v_cmp_gt_u64_e32 vcc_lo, s[0:1], v[7:8]
	s_delay_alu instid0(VALU_DEP_2) | instskip(NEXT) | instid1(VALU_DEP_4)
	v_sub_nc_u32_e32 v4, v0, v3
	v_add3_u32 v2, v9, v2, v6
	s_delay_alu instid0(VALU_DEP_2) | instskip(NEXT) | instid1(VALU_DEP_2)
	v_dual_mov_b32 v5, 0 :: v_dual_mov_b32 v104, v4
	v_lshlrev_b64 v[0:1], 4, v[1:2]
	scratch_store_b64 off, v[0:1], off      ; 8-byte Folded Spill
	s_and_saveexec_b32 s1, vcc_lo
	s_cbranch_execz .LBB0_13
; %bb.10:
	scratch_load_b64 v[2:3], off, off       ; 8-byte Folded Reload
	v_lshlrev_b64 v[0:1], 4, v[4:5]
	v_or_b32_e32 v6, 0x180, v4
	v_mov_b32_e32 v7, v5
	v_or_b32_e32 v24, 0x300, v4
	v_mov_b32_e32 v25, v5
	;; [unrolled: 2-line block ×3, first 2 shown]
	v_lshlrev_b64 v[22:23], 4, v[6:7]
	v_or_b32_e32 v42, 0x600, v4
	v_lshlrev_b64 v[30:31], 4, v[24:25]
	v_mov_b32_e32 v43, v5
	v_lshlrev_b64 v[40:41], 4, v[40:41]
	v_or_b32_e32 v44, 0x780, v4
	v_mov_b32_e32 v45, v5
	v_or_b32_e32 v46, 0x900, v4
	v_lshlrev_b64 v[42:43], 4, v[42:43]
	v_mov_b32_e32 v47, v5
	v_or_b32_e32 v48, 0xa80, v4
	v_lshlrev_b64 v[44:45], 4, v[44:45]
	v_mov_b32_e32 v49, v5
	v_lshl_add_u32 v106, v4, 4, 0
	v_lshlrev_b64 v[46:47], 4, v[46:47]
	s_delay_alu instid0(VALU_DEP_3) | instskip(SKIP_2) | instid1(VALU_DEP_1)
	v_lshlrev_b64 v[48:49], 4, v[48:49]
	s_waitcnt vmcnt(0)
	v_add_co_u32 v2, s0, s8, v2
	v_add_co_ci_u32_e64 v3, s0, s9, v3, s0
	s_delay_alu instid0(VALU_DEP_2) | instskip(NEXT) | instid1(VALU_DEP_1)
	v_add_co_u32 v0, s0, v2, v0
	v_add_co_ci_u32_e64 v1, s0, v3, v1, s0
	s_delay_alu instid0(VALU_DEP_2) | instskip(NEXT) | instid1(VALU_DEP_1)
	v_add_co_u32 v26, s0, 0x1000, v0
	v_add_co_ci_u32_e64 v27, s0, 0, v1, s0
	v_add_co_u32 v22, s0, v2, v22
	s_delay_alu instid0(VALU_DEP_1) | instskip(SKIP_1) | instid1(VALU_DEP_1)
	v_add_co_ci_u32_e64 v23, s0, v3, v23, s0
	v_add_co_u32 v34, s0, 0x2000, v0
	v_add_co_ci_u32_e64 v35, s0, 0, v1, s0
	v_add_co_u32 v38, s0, v2, v30
	s_delay_alu instid0(VALU_DEP_1) | instskip(SKIP_1) | instid1(VALU_DEP_1)
	v_add_co_ci_u32_e64 v39, s0, v3, v31, s0
	;; [unrolled: 5-line block ×7, first 2 shown]
	v_add_co_u32 v112, s0, 0x9000, v0
	v_add_co_ci_u32_e64 v113, s0, 0, v1, s0
	s_clause 0x3
	global_load_b128 v[6:9], v[0:1], off
	global_load_b128 v[10:13], v[0:1], off offset:1536
	global_load_b128 v[14:17], v[0:1], off offset:3072
	;; [unrolled: 1-line block ×3, first 2 shown]
	v_add_co_u32 v0, s0, 0xa000, v0
	s_delay_alu instid0(VALU_DEP_1) | instskip(SKIP_1) | instid1(VALU_DEP_1)
	v_add_co_ci_u32_e64 v1, s0, 0, v1, s0
	v_add_co_u32 v120, s0, v2, v48
	v_add_co_ci_u32_e64 v121, s0, v3, v49, s0
	s_clause 0x19
	global_load_b128 v[22:25], v[22:23], off
	global_load_b128 v[26:29], v[26:27], off offset:3584
	global_load_b128 v[30:33], v[34:35], off offset:1024
	global_load_b128 v[34:37], v[34:35], off offset:2560
	global_load_b128 v[38:41], v[38:39], off
	global_load_b128 v[42:45], v[50:51], off offset:1536
	global_load_b128 v[46:49], v[50:51], off offset:3072
	global_load_b128 v[50:53], v[58:59], off offset:512
	;; [unrolled: 4-line block ×6, first 2 shown]
	global_load_b128 v[120:123], v[120:121], off
	global_load_b128 v[124:127], v[0:1], off offset:3584
	v_mov_b32_e32 v0, v4
	v_cmp_eq_u32_e64 s0, 0x5f, v4
	v_mov_b32_e32 v1, v5
	s_waitcnt vmcnt(29)
	ds_store_b128 v106, v[6:9]
	s_waitcnt vmcnt(28)
	ds_store_b128 v106, v[10:13] offset:1536
	s_waitcnt vmcnt(27)
	ds_store_b128 v106, v[14:17] offset:3072
	;; [unrolled: 2-line block ×29, first 2 shown]
	s_and_saveexec_b32 s2, s0
	s_cbranch_execz .LBB0_12
; %bb.11:
	v_add_co_u32 v0, s0, 0xb000, v2
	s_delay_alu instid0(VALU_DEP_1)
	v_add_co_ci_u32_e64 v1, s0, 0, v3, s0
	v_mov_b32_e32 v2, 0
	v_mov_b32_e32 v4, 0x5f
	global_load_b128 v[5:8], v[0:1], off offset:1024
	v_mov_b32_e32 v0, 0x5f
	v_mov_b32_e32 v1, 0
	s_waitcnt vmcnt(0)
	ds_store_b128 v2, v[5:8] offset:46080
.LBB0_12:
	s_or_b32 exec_lo, exec_lo, s2
	v_dual_mov_b32 v104, v4 :: v_dual_mov_b32 v5, v1
	v_mov_b32_e32 v4, v0
.LBB0_13:
	s_or_b32 exec_lo, exec_lo, s1
	s_delay_alu instid0(VALU_DEP_2)
	v_lshlrev_b32_e32 v0, 4, v104
	s_waitcnt lgkmcnt(0)
	s_waitcnt_vscnt null, 0x0
	s_barrier
	buffer_gl0_inv
	v_lshlrev_b64 v[19:20], 4, v[4:5]
	v_add_nc_u32_e32 v123, 0, v0
	v_sub_nc_u32_e32 v10, 0, v0
	s_add_u32 s1, s4, 0xb360
	s_addc_u32 s2, s5, 0
	s_mov_b32 s3, exec_lo
	ds_load_b64 v[6:7], v123
	ds_load_b64 v[8:9], v10 offset:46080
	s_waitcnt lgkmcnt(0)
	v_add_f64 v[0:1], v[6:7], v[8:9]
	v_add_f64 v[2:3], v[6:7], -v[8:9]
	v_cmpx_ne_u32_e32 0, v104
	s_xor_b32 s3, exec_lo, s3
	s_cbranch_execz .LBB0_15
; %bb.14:
	v_add_co_u32 v0, s0, s1, v19
	s_delay_alu instid0(VALU_DEP_1)
	v_add_co_ci_u32_e64 v1, s0, s2, v20, s0
	v_add_f64 v[13:14], v[6:7], v[8:9]
	v_add_f64 v[8:9], v[6:7], -v[8:9]
	global_load_b128 v[2:5], v[0:1], off
	ds_load_b64 v[0:1], v10 offset:46088
	ds_load_b64 v[11:12], v123 offset:8
	s_waitcnt lgkmcnt(0)
	v_add_f64 v[6:7], v[0:1], v[11:12]
	v_add_f64 v[0:1], v[11:12], -v[0:1]
	s_waitcnt vmcnt(0)
	v_fma_f64 v[11:12], v[8:9], v[4:5], v[13:14]
	v_fma_f64 v[13:14], -v[8:9], v[4:5], v[13:14]
	s_delay_alu instid0(VALU_DEP_3) | instskip(SKIP_1) | instid1(VALU_DEP_4)
	v_fma_f64 v[15:16], v[6:7], v[4:5], -v[0:1]
	v_fma_f64 v[17:18], v[6:7], v[4:5], v[0:1]
	v_fma_f64 v[0:1], -v[6:7], v[2:3], v[11:12]
	s_delay_alu instid0(VALU_DEP_4) | instskip(NEXT) | instid1(VALU_DEP_4)
	v_fma_f64 v[4:5], v[6:7], v[2:3], v[13:14]
	v_fma_f64 v[6:7], v[8:9], v[2:3], v[15:16]
	s_delay_alu instid0(VALU_DEP_4)
	v_fma_f64 v[2:3], v[8:9], v[2:3], v[17:18]
	ds_store_b128 v10, v[4:7] offset:46080
.LBB0_15:
	s_or_saveexec_b32 s0, s3
	scratch_store_b64 off, v[19:20], off offset:32 ; 8-byte Folded Spill
	s_xor_b32 exec_lo, exec_lo, s0
	s_cbranch_execz .LBB0_17
; %bb.16:
	v_mov_b32_e32 v8, 0
	ds_load_b128 v[4:7], v8 offset:23040
	s_waitcnt lgkmcnt(0)
	v_add_f64 v[4:5], v[4:5], v[4:5]
	v_mul_f64 v[6:7], v[6:7], -2.0
	ds_store_b128 v8, v[4:7] offset:23040
.LBB0_17:
	s_or_b32 exec_lo, exec_lo, s0
	v_mov_b32_e32 v105, 0
	s_mov_b32 s10, 0x134454ff
	s_mov_b32 s11, 0x3fee6f0e
	;; [unrolled: 1-line block ×4, first 2 shown]
	v_lshlrev_b64 v[4:5], 4, v[104:105]
	s_mov_b32 s6, 0x372fe950
	s_mov_b32 s7, 0x3fd3c6ef
	;; [unrolled: 1-line block ×5, first 2 shown]
	v_add_co_u32 v4, s0, s1, v4
	s_delay_alu instid0(VALU_DEP_1)
	v_add_co_ci_u32_e64 v5, s0, s2, v5, s0
	s_clause 0x1
	global_load_b128 v[6:9], v[4:5], off offset:1536
	global_load_b128 v[11:14], v[4:5], off offset:3072
	ds_store_b128 v123, v[0:3]
	ds_load_b128 v[0:3], v123 offset:1536
	ds_load_b128 v[15:18], v10 offset:44544
	v_add_co_u32 v23, s0, 0x1000, v4
	s_delay_alu instid0(VALU_DEP_1)
	v_add_co_ci_u32_e64 v24, s0, 0, v5, s0
	global_load_b128 v[19:22], v[23:24], off offset:512
	s_waitcnt lgkmcnt(0)
	v_add_f64 v[25:26], v[0:1], v[15:16]
	v_add_f64 v[27:28], v[17:18], v[2:3]
	v_add_f64 v[29:30], v[0:1], -v[15:16]
	v_add_f64 v[0:1], v[2:3], -v[17:18]
	s_waitcnt vmcnt(2)
	s_delay_alu instid0(VALU_DEP_2) | instskip(NEXT) | instid1(VALU_DEP_2)
	v_fma_f64 v[2:3], v[29:30], v[8:9], v[25:26]
	v_fma_f64 v[15:16], v[27:28], v[8:9], v[0:1]
	v_fma_f64 v[17:18], -v[29:30], v[8:9], v[25:26]
	v_fma_f64 v[8:9], v[27:28], v[8:9], -v[0:1]
	v_or_b32_e32 v25, 0x180, v104
	v_mov_b32_e32 v26, v105
	v_fma_f64 v[0:1], -v[27:28], v[6:7], v[2:3]
	v_fma_f64 v[2:3], v[29:30], v[6:7], v[15:16]
	v_fma_f64 v[15:16], v[27:28], v[6:7], v[17:18]
	;; [unrolled: 1-line block ×3, first 2 shown]
	ds_store_b128 v123, v[0:3] offset:1536
	ds_store_b128 v10, v[15:18] offset:44544
	v_lshlrev_b64 v[15:16], 4, v[25:26]
	ds_load_b128 v[0:3], v123 offset:3072
	ds_load_b128 v[6:9], v10 offset:43008
	s_clause 0x1
	scratch_store_b64 off, v[25:26], off offset:56
	scratch_store_b64 off, v[15:16], off offset:24
	v_add_co_u32 v15, s0, s1, v15
	s_delay_alu instid0(VALU_DEP_1)
	v_add_co_ci_u32_e64 v16, s0, s2, v16, s0
	global_load_b128 v[15:18], v[15:16], off
	s_waitcnt lgkmcnt(0)
	v_add_f64 v[25:26], v[0:1], v[6:7]
	v_add_f64 v[27:28], v[8:9], v[2:3]
	v_add_f64 v[29:30], v[0:1], -v[6:7]
	v_add_f64 v[0:1], v[2:3], -v[8:9]
	s_waitcnt vmcnt(2)
	s_delay_alu instid0(VALU_DEP_2) | instskip(NEXT) | instid1(VALU_DEP_2)
	v_fma_f64 v[2:3], v[29:30], v[13:14], v[25:26]
	v_fma_f64 v[6:7], v[27:28], v[13:14], v[0:1]
	v_fma_f64 v[8:9], -v[29:30], v[13:14], v[25:26]
	v_fma_f64 v[13:14], v[27:28], v[13:14], -v[0:1]
	s_delay_alu instid0(VALU_DEP_4) | instskip(NEXT) | instid1(VALU_DEP_4)
	v_fma_f64 v[0:1], -v[27:28], v[11:12], v[2:3]
	v_fma_f64 v[2:3], v[29:30], v[11:12], v[6:7]
	s_delay_alu instid0(VALU_DEP_4) | instskip(NEXT) | instid1(VALU_DEP_4)
	v_fma_f64 v[6:7], v[27:28], v[11:12], v[8:9]
	v_fma_f64 v[8:9], v[29:30], v[11:12], v[13:14]
	ds_store_b128 v123, v[0:3] offset:3072
	ds_store_b128 v10, v[6:9] offset:43008
	ds_load_b128 v[0:3], v123 offset:4608
	ds_load_b128 v[6:9], v10 offset:41472
	global_load_b128 v[11:14], v[23:24], off offset:3584
	s_waitcnt lgkmcnt(0)
	v_add_f64 v[23:24], v[0:1], v[6:7]
	v_add_f64 v[25:26], v[8:9], v[2:3]
	v_add_f64 v[27:28], v[0:1], -v[6:7]
	v_add_f64 v[0:1], v[2:3], -v[8:9]
	s_waitcnt vmcnt(2)
	s_delay_alu instid0(VALU_DEP_2) | instskip(NEXT) | instid1(VALU_DEP_2)
	v_fma_f64 v[2:3], v[27:28], v[21:22], v[23:24]
	v_fma_f64 v[6:7], v[25:26], v[21:22], v[0:1]
	v_fma_f64 v[8:9], -v[27:28], v[21:22], v[23:24]
	v_fma_f64 v[21:22], v[25:26], v[21:22], -v[0:1]
	v_add_co_u32 v23, s0, 0x2000, v4
	s_delay_alu instid0(VALU_DEP_1)
	v_add_co_ci_u32_e64 v24, s0, 0, v5, s0
	v_fma_f64 v[0:1], -v[25:26], v[19:20], v[2:3]
	v_fma_f64 v[2:3], v[27:28], v[19:20], v[6:7]
	v_fma_f64 v[6:7], v[25:26], v[19:20], v[8:9]
	;; [unrolled: 1-line block ×3, first 2 shown]
	ds_store_b128 v123, v[0:3] offset:4608
	ds_store_b128 v10, v[6:9] offset:41472
	ds_load_b128 v[0:3], v123 offset:6144
	ds_load_b128 v[6:9], v10 offset:39936
	global_load_b128 v[19:22], v[23:24], off offset:1024
	s_waitcnt lgkmcnt(0)
	v_add_f64 v[25:26], v[0:1], v[6:7]
	v_add_f64 v[27:28], v[8:9], v[2:3]
	v_add_f64 v[29:30], v[0:1], -v[6:7]
	v_add_f64 v[0:1], v[2:3], -v[8:9]
	s_waitcnt vmcnt(2)
	s_delay_alu instid0(VALU_DEP_2) | instskip(NEXT) | instid1(VALU_DEP_2)
	v_fma_f64 v[2:3], v[29:30], v[17:18], v[25:26]
	v_fma_f64 v[6:7], v[27:28], v[17:18], v[0:1]
	v_fma_f64 v[8:9], -v[29:30], v[17:18], v[25:26]
	v_fma_f64 v[17:18], v[27:28], v[17:18], -v[0:1]
	s_delay_alu instid0(VALU_DEP_4) | instskip(NEXT) | instid1(VALU_DEP_4)
	v_fma_f64 v[0:1], -v[27:28], v[15:16], v[2:3]
	v_fma_f64 v[2:3], v[29:30], v[15:16], v[6:7]
	s_delay_alu instid0(VALU_DEP_4) | instskip(NEXT) | instid1(VALU_DEP_4)
	v_fma_f64 v[6:7], v[27:28], v[15:16], v[8:9]
	v_fma_f64 v[8:9], v[29:30], v[15:16], v[17:18]
	ds_store_b128 v123, v[0:3] offset:6144
	ds_store_b128 v10, v[6:9] offset:39936
	ds_load_b128 v[0:3], v123 offset:7680
	ds_load_b128 v[6:9], v10 offset:38400
	global_load_b128 v[15:18], v[23:24], off offset:2560
	s_waitcnt lgkmcnt(0)
	v_add_f64 v[23:24], v[0:1], v[6:7]
	v_add_f64 v[25:26], v[8:9], v[2:3]
	v_add_f64 v[27:28], v[0:1], -v[6:7]
	v_add_f64 v[0:1], v[2:3], -v[8:9]
	s_waitcnt vmcnt(2)
	s_delay_alu instid0(VALU_DEP_2) | instskip(NEXT) | instid1(VALU_DEP_2)
	v_fma_f64 v[2:3], v[27:28], v[13:14], v[23:24]
	v_fma_f64 v[6:7], v[25:26], v[13:14], v[0:1]
	v_fma_f64 v[8:9], -v[27:28], v[13:14], v[23:24]
	v_fma_f64 v[13:14], v[25:26], v[13:14], -v[0:1]
	s_delay_alu instid0(VALU_DEP_4) | instskip(NEXT) | instid1(VALU_DEP_4)
	v_fma_f64 v[0:1], -v[25:26], v[11:12], v[2:3]
	v_fma_f64 v[2:3], v[27:28], v[11:12], v[6:7]
	s_delay_alu instid0(VALU_DEP_4) | instskip(NEXT) | instid1(VALU_DEP_4)
	v_fma_f64 v[6:7], v[25:26], v[11:12], v[8:9]
	v_fma_f64 v[8:9], v[27:28], v[11:12], v[13:14]
	ds_store_b128 v123, v[0:3] offset:7680
	ds_store_b128 v10, v[6:9] offset:38400
	ds_load_b128 v[0:3], v123 offset:9216
	ds_load_b128 v[6:9], v10 offset:36864
	s_waitcnt lgkmcnt(0)
	v_add_f64 v[11:12], v[0:1], v[6:7]
	v_add_f64 v[13:14], v[8:9], v[2:3]
	v_add_f64 v[23:24], v[0:1], -v[6:7]
	v_add_f64 v[0:1], v[2:3], -v[8:9]
	s_waitcnt vmcnt(1)
	s_delay_alu instid0(VALU_DEP_2) | instskip(NEXT) | instid1(VALU_DEP_2)
	v_fma_f64 v[6:7], v[23:24], v[21:22], v[11:12]
	v_fma_f64 v[8:9], v[13:14], v[21:22], v[0:1]
	v_fma_f64 v[11:12], -v[23:24], v[21:22], v[11:12]
	v_fma_f64 v[21:22], v[13:14], v[21:22], -v[0:1]
	v_or_b32_e32 v0, 0x300, v104
	v_mov_b32_e32 v1, v105
	scratch_store_b64 off, v[0:1], off offset:40 ; 8-byte Folded Spill
	v_lshlrev_b64 v[0:1], 4, v[0:1]
	scratch_store_b64 off, v[0:1], off offset:8 ; 8-byte Folded Spill
	v_add_co_u32 v0, s0, s1, v0
	s_delay_alu instid0(VALU_DEP_1) | instskip(SKIP_1) | instid1(VALU_DEP_1)
	v_add_co_ci_u32_e64 v1, s0, s2, v1, s0
	v_add_co_u32 v27, s0, 0x3000, v4
	v_add_co_ci_u32_e64 v28, s0, 0, v5, s0
	global_load_b128 v[0:3], v[0:1], off
	v_fma_f64 v[6:7], -v[13:14], v[19:20], v[6:7]
	v_fma_f64 v[8:9], v[23:24], v[19:20], v[8:9]
	v_fma_f64 v[11:12], v[13:14], v[19:20], v[11:12]
	v_fma_f64 v[13:14], v[23:24], v[19:20], v[21:22]
	ds_store_b128 v123, v[6:9] offset:9216
	ds_store_b128 v10, v[11:14] offset:36864
	ds_load_b128 v[6:9], v123 offset:10752
	ds_load_b128 v[11:14], v10 offset:35328
	s_waitcnt lgkmcnt(0)
	v_add_f64 v[19:20], v[6:7], v[11:12]
	v_add_f64 v[21:22], v[13:14], v[8:9]
	v_add_f64 v[23:24], v[6:7], -v[11:12]
	v_add_f64 v[25:26], v[8:9], -v[13:14]
	global_load_b128 v[11:14], v[27:28], off offset:1536
	s_waitcnt vmcnt(2)
	v_fma_f64 v[6:7], v[23:24], v[17:18], v[19:20]
	v_fma_f64 v[8:9], v[21:22], v[17:18], v[25:26]
	v_fma_f64 v[19:20], -v[23:24], v[17:18], v[19:20]
	v_fma_f64 v[25:26], v[21:22], v[17:18], -v[25:26]
	s_delay_alu instid0(VALU_DEP_4) | instskip(NEXT) | instid1(VALU_DEP_4)
	v_fma_f64 v[6:7], -v[21:22], v[15:16], v[6:7]
	v_fma_f64 v[8:9], v[23:24], v[15:16], v[8:9]
	s_delay_alu instid0(VALU_DEP_4) | instskip(NEXT) | instid1(VALU_DEP_4)
	v_fma_f64 v[17:18], v[21:22], v[15:16], v[19:20]
	v_fma_f64 v[19:20], v[23:24], v[15:16], v[25:26]
	ds_store_b128 v123, v[6:9] offset:10752
	ds_store_b128 v10, v[17:20] offset:35328
	ds_load_b128 v[6:9], v123 offset:12288
	ds_load_b128 v[15:18], v10 offset:33792
	s_waitcnt lgkmcnt(0)
	v_add_f64 v[19:20], v[6:7], v[15:16]
	v_add_f64 v[21:22], v[17:18], v[8:9]
	v_add_f64 v[23:24], v[6:7], -v[15:16]
	v_add_f64 v[6:7], v[8:9], -v[17:18]
	s_waitcnt vmcnt(1)
	s_delay_alu instid0(VALU_DEP_2) | instskip(NEXT) | instid1(VALU_DEP_2)
	v_fma_f64 v[15:16], v[23:24], v[2:3], v[19:20]
	v_fma_f64 v[17:18], v[21:22], v[2:3], v[6:7]
	v_fma_f64 v[19:20], -v[23:24], v[2:3], v[19:20]
	v_fma_f64 v[2:3], v[21:22], v[2:3], -v[6:7]
	global_load_b128 v[6:9], v[27:28], off offset:3072
	v_add_co_u32 v27, s0, 0x4000, v4
	s_delay_alu instid0(VALU_DEP_1)
	v_add_co_ci_u32_e64 v28, s0, 0, v5, s0
	v_fma_f64 v[15:16], -v[21:22], v[0:1], v[15:16]
	v_fma_f64 v[17:18], v[23:24], v[0:1], v[17:18]
	v_fma_f64 v[19:20], v[21:22], v[0:1], v[19:20]
	;; [unrolled: 1-line block ×3, first 2 shown]
	ds_store_b128 v123, v[15:18] offset:12288
	ds_store_b128 v10, v[19:22] offset:33792
	ds_load_b128 v[0:3], v123 offset:13824
	ds_load_b128 v[15:18], v10 offset:32256
	s_waitcnt lgkmcnt(0)
	v_add_f64 v[19:20], v[0:1], v[15:16]
	v_add_f64 v[21:22], v[17:18], v[2:3]
	v_add_f64 v[23:24], v[0:1], -v[15:16]
	v_add_f64 v[25:26], v[2:3], -v[17:18]
	global_load_b128 v[15:18], v[27:28], off offset:512
	s_waitcnt vmcnt(2)
	v_fma_f64 v[0:1], v[23:24], v[13:14], v[19:20]
	v_fma_f64 v[2:3], v[21:22], v[13:14], v[25:26]
	v_fma_f64 v[19:20], -v[23:24], v[13:14], v[19:20]
	v_fma_f64 v[13:14], v[21:22], v[13:14], -v[25:26]
	s_delay_alu instid0(VALU_DEP_4) | instskip(NEXT) | instid1(VALU_DEP_4)
	v_fma_f64 v[0:1], -v[21:22], v[11:12], v[0:1]
	v_fma_f64 v[2:3], v[23:24], v[11:12], v[2:3]
	s_delay_alu instid0(VALU_DEP_4) | instskip(NEXT) | instid1(VALU_DEP_4)
	v_fma_f64 v[19:20], v[21:22], v[11:12], v[19:20]
	v_fma_f64 v[21:22], v[23:24], v[11:12], v[13:14]
	ds_store_b128 v123, v[0:3] offset:13824
	ds_store_b128 v10, v[19:22] offset:32256
	ds_load_b128 v[0:3], v123 offset:15360
	ds_load_b128 v[11:14], v10 offset:30720
	s_waitcnt lgkmcnt(0)
	v_add_f64 v[19:20], v[0:1], v[11:12]
	v_add_f64 v[21:22], v[13:14], v[2:3]
	v_add_f64 v[23:24], v[0:1], -v[11:12]
	v_add_f64 v[0:1], v[2:3], -v[13:14]
	s_waitcnt vmcnt(1)
	s_delay_alu instid0(VALU_DEP_2) | instskip(NEXT) | instid1(VALU_DEP_2)
	v_fma_f64 v[2:3], v[23:24], v[8:9], v[19:20]
	v_fma_f64 v[11:12], v[21:22], v[8:9], v[0:1]
	v_fma_f64 v[13:14], -v[23:24], v[8:9], v[19:20]
	v_fma_f64 v[8:9], v[21:22], v[8:9], -v[0:1]
	s_delay_alu instid0(VALU_DEP_4) | instskip(NEXT) | instid1(VALU_DEP_4)
	v_fma_f64 v[0:1], -v[21:22], v[6:7], v[2:3]
	v_fma_f64 v[2:3], v[23:24], v[6:7], v[11:12]
	s_delay_alu instid0(VALU_DEP_4) | instskip(NEXT) | instid1(VALU_DEP_4)
	v_fma_f64 v[11:12], v[21:22], v[6:7], v[13:14]
	v_fma_f64 v[13:14], v[23:24], v[6:7], v[8:9]
	ds_store_b128 v123, v[0:3] offset:15360
	ds_store_b128 v10, v[11:14] offset:30720
	ds_load_b128 v[0:3], v123 offset:16896
	ds_load_b128 v[6:9], v10 offset:29184
	s_waitcnt lgkmcnt(0)
	v_add_f64 v[11:12], v[0:1], v[6:7]
	v_add_f64 v[13:14], v[8:9], v[2:3]
	v_add_f64 v[19:20], v[0:1], -v[6:7]
	v_add_f64 v[6:7], v[2:3], -v[8:9]
	global_load_b128 v[0:3], v[27:28], off offset:3584
	s_waitcnt vmcnt(1)
	v_fma_f64 v[8:9], v[19:20], v[17:18], v[11:12]
	v_fma_f64 v[21:22], v[13:14], v[17:18], v[6:7]
	v_fma_f64 v[11:12], -v[19:20], v[17:18], v[11:12]
	v_fma_f64 v[17:18], v[13:14], v[17:18], -v[6:7]
	v_or_b32_e32 v6, 0x480, v104
	v_mov_b32_e32 v7, v105
	s_delay_alu instid0(VALU_DEP_1)
	v_lshlrev_b64 v[23:24], 4, v[6:7]
	s_clause 0x1
	scratch_store_b64 off, v[6:7], off offset:48
	scratch_store_b64 off, v[23:24], off offset:16
	v_fma_f64 v[6:7], -v[13:14], v[15:16], v[8:9]
	v_fma_f64 v[8:9], v[19:20], v[15:16], v[21:22]
	v_add_co_u32 v21, s0, s1, v23
	s_delay_alu instid0(VALU_DEP_1)
	v_add_co_ci_u32_e64 v22, s0, s2, v24, s0
	v_fma_f64 v[11:12], v[13:14], v[15:16], v[11:12]
	v_fma_f64 v[13:14], v[19:20], v[15:16], v[17:18]
	v_add_co_u32 v4, s0, 0x5000, v4
	global_load_b128 v[15:18], v[21:22], off
	ds_store_b128 v123, v[6:9] offset:16896
	ds_store_b128 v10, v[11:14] offset:29184
	ds_load_b128 v[6:9], v123 offset:18432
	ds_load_b128 v[11:14], v10 offset:27648
	v_add_co_ci_u32_e64 v5, s0, 0, v5, s0
	s_mov_b32 s0, 0x4755a5e
	s_mov_b32 s1, 0x3fe2cf23
	;; [unrolled: 1-line block ×3, first 2 shown]
	s_waitcnt lgkmcnt(0)
	v_add_f64 v[19:20], v[6:7], v[11:12]
	v_add_f64 v[23:24], v[6:7], -v[11:12]
	global_load_b128 v[4:7], v[4:5], off offset:1024
	v_add_f64 v[21:22], v[13:14], v[8:9]
	v_add_f64 v[8:9], v[8:9], -v[13:14]
	s_waitcnt vmcnt(1)
	v_fma_f64 v[11:12], v[23:24], v[17:18], v[19:20]
	s_delay_alu instid0(VALU_DEP_2) | instskip(SKIP_2) | instid1(VALU_DEP_4)
	v_fma_f64 v[13:14], v[21:22], v[17:18], v[8:9]
	v_fma_f64 v[19:20], -v[23:24], v[17:18], v[19:20]
	v_fma_f64 v[8:9], v[21:22], v[17:18], -v[8:9]
	v_fma_f64 v[11:12], -v[21:22], v[15:16], v[11:12]
	s_delay_alu instid0(VALU_DEP_4) | instskip(NEXT) | instid1(VALU_DEP_4)
	v_fma_f64 v[13:14], v[23:24], v[15:16], v[13:14]
	v_fma_f64 v[17:18], v[21:22], v[15:16], v[19:20]
	s_delay_alu instid0(VALU_DEP_4)
	v_fma_f64 v[19:20], v[23:24], v[15:16], v[8:9]
	ds_store_b128 v123, v[11:14] offset:18432
	ds_store_b128 v10, v[17:20] offset:27648
	ds_load_b128 v[11:14], v123 offset:19968
	ds_load_b128 v[15:18], v10 offset:26112
	s_waitcnt lgkmcnt(0)
	v_add_f64 v[8:9], v[11:12], v[15:16]
	v_add_f64 v[19:20], v[17:18], v[13:14]
	v_add_f64 v[21:22], v[11:12], -v[15:16]
	v_add_f64 v[11:12], v[13:14], -v[17:18]
	s_delay_alu instid0(VALU_DEP_2) | instskip(NEXT) | instid1(VALU_DEP_2)
	v_fma_f64 v[13:14], v[21:22], v[2:3], v[8:9]
	v_fma_f64 v[15:16], v[19:20], v[2:3], v[11:12]
	v_fma_f64 v[8:9], -v[21:22], v[2:3], v[8:9]
	v_fma_f64 v[2:3], v[19:20], v[2:3], -v[11:12]
	s_delay_alu instid0(VALU_DEP_4) | instskip(NEXT) | instid1(VALU_DEP_4)
	v_fma_f64 v[11:12], -v[19:20], v[0:1], v[13:14]
	v_fma_f64 v[13:14], v[21:22], v[0:1], v[15:16]
	s_delay_alu instid0(VALU_DEP_4) | instskip(NEXT) | instid1(VALU_DEP_4)
	v_fma_f64 v[15:16], v[19:20], v[0:1], v[8:9]
	v_fma_f64 v[17:18], v[21:22], v[0:1], v[2:3]
	ds_store_b128 v123, v[11:14] offset:19968
	ds_store_b128 v10, v[15:18] offset:26112
	ds_load_b128 v[0:3], v123 offset:21504
	ds_load_b128 v[11:14], v10 offset:24576
	s_waitcnt lgkmcnt(0)
	v_add_f64 v[8:9], v[0:1], v[11:12]
	v_add_f64 v[15:16], v[13:14], v[2:3]
	v_add_f64 v[11:12], v[0:1], -v[11:12]
	v_add_f64 v[0:1], v[2:3], -v[13:14]
	s_waitcnt vmcnt(0)
	s_delay_alu instid0(VALU_DEP_2) | instskip(NEXT) | instid1(VALU_DEP_2)
	v_fma_f64 v[2:3], v[11:12], v[6:7], v[8:9]
	v_fma_f64 v[13:14], v[15:16], v[6:7], v[0:1]
	v_fma_f64 v[8:9], -v[11:12], v[6:7], v[8:9]
	v_fma_f64 v[17:18], v[15:16], v[6:7], -v[0:1]
	s_delay_alu instid0(VALU_DEP_4) | instskip(NEXT) | instid1(VALU_DEP_4)
	v_fma_f64 v[0:1], -v[15:16], v[4:5], v[2:3]
	v_fma_f64 v[2:3], v[11:12], v[4:5], v[13:14]
	s_delay_alu instid0(VALU_DEP_4) | instskip(NEXT) | instid1(VALU_DEP_4)
	v_fma_f64 v[6:7], v[15:16], v[4:5], v[8:9]
	v_fma_f64 v[8:9], v[11:12], v[4:5], v[17:18]
	ds_store_b128 v123, v[0:3] offset:21504
	ds_store_b128 v10, v[6:9] offset:24576
	s_waitcnt lgkmcnt(0)
	s_waitcnt_vscnt null, 0x0
	s_barrier
	buffer_gl0_inv
	s_barrier
	buffer_gl0_inv
	ds_load_b128 v[8:11], v123 offset:9216
	ds_load_b128 v[0:3], v123
	ds_load_b128 v[4:7], v123 offset:1536
	ds_load_b128 v[12:15], v123 offset:10752
	;; [unrolled: 1-line block ×6, first 2 shown]
	s_waitcnt lgkmcnt(6)
	v_add_f64 v[20:21], v[0:1], v[8:9]
	s_waitcnt lgkmcnt(3)
	v_add_f64 v[116:117], v[8:9], -v[16:17]
	s_waitcnt lgkmcnt(1)
	v_add_f64 v[92:93], v[16:17], v[32:33]
	v_add_f64 v[44:45], v[18:19], -v[34:35]
	v_add_f64 v[120:121], v[16:17], -v[8:9]
	v_add_f64 v[94:95], v[18:19], v[34:35]
	v_add_f64 v[46:47], v[16:17], -v[32:33]
	v_add_f64 v[112:113], v[10:11], -v[18:19]
	;; [unrolled: 1-line block ×3, first 2 shown]
	s_waitcnt lgkmcnt(0)
	v_add_f64 v[160:161], v[36:37], v[40:41]
	v_add_f64 v[162:163], v[38:39], -v[42:43]
	v_add_f64 v[164:165], v[12:13], -v[36:37]
	;; [unrolled: 1-line block ×3, first 2 shown]
	v_add_f64 v[168:169], v[38:39], v[42:43]
	v_add_f64 v[170:171], v[36:37], -v[40:41]
	v_add_f64 v[172:173], v[14:15], -v[38:39]
	;; [unrolled: 1-line block ×3, first 2 shown]
	v_add_f64 v[24:25], v[20:21], v[16:17]
	v_add_f64 v[20:21], v[2:3], v[10:11]
	s_delay_alu instid0(VALU_DEP_1)
	v_add_f64 v[26:27], v[20:21], v[18:19]
	ds_load_b128 v[16:19], v123 offset:36864
	ds_load_b128 v[52:55], v123 offset:38400
	s_waitcnt lgkmcnt(1)
	v_add_f64 v[48:49], v[10:11], -v[18:19]
	v_add_f64 v[96:97], v[8:9], v[16:17]
	v_add_f64 v[50:51], v[8:9], -v[16:17]
	v_add_f64 v[98:99], v[10:11], v[18:19]
	v_add_f64 v[8:9], v[24:25], v[32:33]
	v_add_f64 v[30:31], v[16:17], -v[32:33]
	v_add_f64 v[32:33], v[32:33], -v[16:17]
	;; [unrolled: 1-line block ×3, first 2 shown]
	s_waitcnt lgkmcnt(0)
	v_add_f64 v[176:177], v[14:15], -v[54:55]
	v_add_f64 v[178:179], v[12:13], v[52:53]
	v_add_f64 v[180:181], v[12:13], -v[52:53]
	v_add_f64 v[182:183], v[14:15], v[54:55]
	v_add_f64 v[184:185], v[52:53], -v[40:41]
	v_add_f64 v[186:187], v[40:41], -v[52:53]
	;; [unrolled: 1-line block ×4, first 2 shown]
	v_add_f64 v[10:11], v[26:27], v[34:35]
	v_add_f64 v[34:35], v[34:35], -v[18:19]
	v_add_f64 v[100:101], v[8:9], v[16:17]
	s_delay_alu instid0(VALU_DEP_3)
	v_add_f64 v[102:103], v[10:11], v[18:19]
	ds_load_b128 v[8:11], v123 offset:13824
	ds_load_b128 v[16:19], v123 offset:4608
	;; [unrolled: 1-line block ×6, first 2 shown]
	s_waitcnt lgkmcnt(4)
	v_add_f64 v[72:73], v[16:17], v[8:9]
	s_waitcnt lgkmcnt(1)
	v_add_f64 v[130:131], v[8:9], -v[64:65]
	v_add_f64 v[132:133], v[64:65], -v[8:9]
	;; [unrolled: 1-line block ×4, first 2 shown]
	s_waitcnt lgkmcnt(0)
	v_add_f64 v[228:229], v[60:61], -v[68:69]
	v_add_f64 v[230:231], v[68:69], -v[60:61]
	;; [unrolled: 1-line block ×4, first 2 shown]
	v_add_f64 v[84:85], v[72:73], v[64:65]
	v_add_f64 v[72:73], v[18:19], v[10:11]
	s_delay_alu instid0(VALU_DEP_1)
	v_add_f64 v[86:87], v[72:73], v[66:67]
	ds_load_b128 v[72:75], v123 offset:32256
	ds_load_b128 v[76:79], v123 offset:30720
	s_waitcnt lgkmcnt(1)
	v_add_f64 v[124:125], v[64:65], v[72:73]
	v_add_f64 v[128:129], v[66:67], -v[74:75]
	v_add_f64 v[126:127], v[66:67], v[74:75]
	v_add_f64 v[134:135], v[64:65], -v[72:73]
	ds_load_b128 v[64:67], v123 offset:41472
	ds_load_b128 v[80:83], v123 offset:39936
	s_waitcnt lgkmcnt(2)
	v_add_f64 v[224:225], v[68:69], v[76:77]
	v_add_f64 v[234:235], v[68:69], -v[76:77]
	v_add_f64 v[226:227], v[70:71], -v[78:79]
	v_add_f64 v[232:233], v[70:71], v[78:79]
	s_waitcnt lgkmcnt(1)
	v_add_f64 v[140:141], v[10:11], -v[66:67]
	v_add_f64 v[142:143], v[8:9], v[64:65]
	v_add_f64 v[144:145], v[8:9], -v[64:65]
	v_add_f64 v[146:147], v[10:11], v[66:67]
	v_add_f64 v[8:9], v[84:85], v[72:73]
	;; [unrolled: 1-line block ×3, first 2 shown]
	v_add_f64 v[148:149], v[64:65], -v[72:73]
	v_add_f64 v[150:151], v[72:73], -v[64:65]
	;; [unrolled: 1-line block ×4, first 2 shown]
	s_waitcnt lgkmcnt(0)
	v_add_f64 v[240:241], v[62:63], -v[82:83]
	v_add_f64 v[242:243], v[60:61], -v[80:81]
	;; [unrolled: 1-line block ×5, first 2 shown]
	v_fma_f64 v[232:233], v[232:233], -0.5, v[58:59]
	v_add_f64 v[156:157], v[8:9], v[64:65]
	v_add_f64 v[158:159], v[10:11], v[66:67]
	;; [unrolled: 1-line block ×4, first 2 shown]
	s_delay_alu instid0(VALU_DEP_2) | instskip(NEXT) | instid1(VALU_DEP_2)
	v_add_f64 v[8:9], v[8:9], v[36:37]
	v_add_f64 v[10:11], v[10:11], v[38:39]
	s_delay_alu instid0(VALU_DEP_2) | instskip(NEXT) | instid1(VALU_DEP_2)
	v_add_f64 v[8:9], v[8:9], v[40:41]
	v_add_f64 v[10:11], v[10:11], v[42:43]
	;; [unrolled: 3-line block ×3, first 2 shown]
	ds_load_b128 v[8:11], v123 offset:15360
	ds_load_b128 v[12:15], v123 offset:6144
	ds_load_b128 v[36:39], v123 offset:7680
	ds_load_b128 v[40:43], v123 offset:16896
	ds_load_b128 v[52:55], v123 offset:24576
	ds_load_b128 v[64:67], v123 offset:26112
	s_waitcnt lgkmcnt(4)
	v_add_f64 v[72:73], v[12:13], v[8:9]
	s_waitcnt lgkmcnt(1)
	v_add_f64 v[204:205], v[8:9], -v[52:53]
	v_add_f64 v[206:207], v[52:53], -v[8:9]
	;; [unrolled: 1-line block ×4, first 2 shown]
	s_waitcnt lgkmcnt(0)
	v_add_f64 v[252:253], v[40:41], -v[64:65]
	v_add_f64 v[254:255], v[64:65], -v[40:41]
	;; [unrolled: 1-line block ×4, first 2 shown]
	v_add_f64 v[196:197], v[72:73], v[52:53]
	v_add_f64 v[72:73], v[14:15], v[10:11]
	s_delay_alu instid0(VALU_DEP_1)
	v_add_f64 v[198:199], v[72:73], v[54:55]
	ds_load_b128 v[72:75], v123 offset:33792
	ds_load_b128 v[84:87], v123 offset:35328
	s_waitcnt lgkmcnt(1)
	v_add_f64 v[200:201], v[52:53], v[72:73]
	v_add_f64 v[202:203], v[54:55], -v[74:75]
	v_add_f64 v[208:209], v[54:55], v[74:75]
	v_add_f64 v[210:211], v[52:53], -v[72:73]
	ds_load_b128 v[52:55], v123 offset:43008
	ds_load_b128 v[88:91], v123 offset:44544
	s_waitcnt lgkmcnt(2)
	v_add_f64 v[106:107], v[64:65], -v[84:85]
	v_add_f64 v[250:251], v[66:67], -v[86:87]
	s_waitcnt lgkmcnt(1)
	v_add_f64 v[216:217], v[10:11], -v[54:55]
	v_add_f64 v[218:219], v[8:9], v[52:53]
	v_add_f64 v[220:221], v[8:9], -v[52:53]
	v_add_f64 v[8:9], v[10:11], v[54:55]
	v_add_f64 v[10:11], v[196:197], v[72:73]
	;; [unrolled: 1-line block ×3, first 2 shown]
	v_add_f64 v[198:199], v[52:53], -v[72:73]
	v_add_f64 v[72:73], v[72:73], -v[52:53]
	;; [unrolled: 1-line block ×4, first 2 shown]
	s_waitcnt lgkmcnt(0)
	v_add_f64 v[110:111], v[42:43], -v[90:91]
	v_add_f64 v[20:21], v[40:41], -v[88:89]
	;; [unrolled: 1-line block ×5, first 2 shown]
	v_add_f64 v[52:53], v[10:11], v[52:53]
	v_add_f64 v[54:55], v[196:197], v[54:55]
	;; [unrolled: 1-line block ×13, first 2 shown]
	s_delay_alu instid0(VALU_DEP_4) | instskip(NEXT) | instid1(VALU_DEP_4)
	v_add_f64 v[10:11], v[10:11], v[76:77]
	v_add_f64 v[62:63], v[196:197], v[78:79]
	v_add_f64 v[196:197], v[80:81], -v[76:77]
	v_add_f64 v[76:77], v[38:39], v[42:43]
	v_add_f64 v[78:79], v[64:65], v[84:85]
	;; [unrolled: 1-line block ×7, first 2 shown]
	v_fma_f64 v[82:83], v[96:97], -0.5, v[0:1]
	v_fma_f64 v[96:97], v[146:147], -0.5, v[18:19]
	v_add_f64 v[10:11], v[10:11], v[64:65]
	v_add_f64 v[64:65], v[40:41], v[88:89]
	;; [unrolled: 1-line block ×4, first 2 shown]
	v_fma_f64 v[76:77], v[92:93], -0.5, v[0:1]
	v_fma_f64 v[92:93], v[142:143], -0.5, v[16:17]
	v_fma_f64 v[142:143], v[178:179], -0.5, v[4:5]
	v_fma_f64 v[178:179], v[200:201], -0.5, v[12:13]
	v_fma_f64 v[200:201], v[208:209], -0.5, v[14:15]
	v_fma_f64 v[208:209], v[8:9], -0.5, v[14:15]
	v_add_f64 v[8:9], v[192:193], v[52:53]
	v_add_f64 v[14:15], v[102:103], -v[158:159]
	v_fma_f64 v[0:1], v[60:61], -0.5, v[58:59]
	v_add_f64 v[60:61], v[138:139], v[154:155]
	v_add_f64 v[58:59], v[132:133], v[150:151]
	;; [unrolled: 1-line block ×3, first 2 shown]
	v_add_f64 v[84:85], v[90:91], -v[86:87]
	v_fma_f64 v[86:87], v[94:95], -0.5, v[2:3]
	v_add_f64 v[42:43], v[42:43], v[90:91]
	v_fma_f64 v[90:91], v[124:125], -0.5, v[16:17]
	v_fma_f64 v[94:95], v[126:127], -0.5, v[18:19]
	v_add_f64 v[16:17], v[192:193], -v[52:53]
	v_add_f64 v[52:53], v[112:113], v[28:29]
	v_add_f64 v[18:19], v[194:195], -v[54:55]
	v_add_f64 v[126:127], v[102:103], v[158:159]
	v_add_f64 v[124:125], v[100:101], v[156:157]
	;; [unrolled: 1-line block ×5, first 2 shown]
	v_fma_f64 v[88:89], v[98:99], -0.5, v[2:3]
	v_fma_f64 v[98:99], v[160:161], -0.5, v[4:5]
	;; [unrolled: 1-line block ×3, first 2 shown]
	v_fma_f64 v[28:29], v[140:141], s[10:11], v[90:91]
	v_fma_f64 v[168:169], v[182:183], -0.5, v[6:7]
	v_fma_f64 v[4:5], v[80:81], -0.5, v[38:39]
	;; [unrolled: 1-line block ×3, first 2 shown]
	v_add_f64 v[10:11], v[194:195], v[54:55]
	v_add_f64 v[38:39], v[116:117], v[30:31]
	;; [unrolled: 1-line block ×3, first 2 shown]
	v_fma_f64 v[30:31], v[144:145], s[14:15], v[94:95]
	v_fma_f64 v[182:183], v[218:219], -0.5, v[12:13]
	v_fma_f64 v[218:219], v[224:225], -0.5, v[56:57]
	;; [unrolled: 1-line block ×3, first 2 shown]
	v_add_f64 v[56:57], v[136:137], v[152:153]
	scratch_store_b128 off, v[16:19], off offset:64 ; 16-byte Folded Spill
	v_add_f64 v[194:195], v[62:63], v[42:43]
	v_add_f64 v[18:19], v[62:63], -v[42:43]
	v_fma_f64 v[42:43], v[50:51], s[14:15], v[86:87]
	v_add_f64 v[12:13], v[100:101], -v[156:157]
	v_fma_f64 v[2:3], v[78:79], -0.5, v[36:37]
	v_fma_f64 v[36:37], v[64:65], -0.5, v[36:37]
	v_add_f64 v[78:79], v[204:205], v[198:199]
	v_add_f64 v[80:81], v[212:213], v[222:223]
	;; [unrolled: 1-line block ×4, first 2 shown]
	s_waitcnt_vscnt null, 0x0
	s_barrier
	buffer_gl0_inv
	v_add_f64 v[100:101], v[230:231], v[244:245]
	v_add_f64 v[192:193], v[70:71], v[66:67]
	v_add_f64 v[16:17], v[70:71], -v[66:67]
	v_add_f64 v[70:71], v[174:175], v[190:191]
	v_fma_f64 v[28:29], v[128:129], s[0:1], v[28:29]
	v_fma_f64 v[30:31], v[134:135], s[2:3], v[30:31]
	;; [unrolled: 1-line block ×4, first 2 shown]
	s_delay_alu instid0(VALU_DEP_4) | instskip(NEXT) | instid1(VALU_DEP_4)
	v_fma_f64 v[28:29], v[54:55], s[6:7], v[28:29]
	v_fma_f64 v[30:31], v[56:57], s[6:7], v[30:31]
	s_delay_alu instid0(VALU_DEP_4) | instskip(NEXT) | instid1(VALU_DEP_4)
	v_fma_f64 v[42:43], v[52:53], s[6:7], v[42:43]
	v_fma_f64 v[84:85], v[250:251], s[0:1], v[84:85]
	s_delay_alu instid0(VALU_DEP_4) | instskip(SKIP_1) | instid1(VALU_DEP_3)
	v_mul_f64 v[40:41], v[28:29], s[12:13]
	v_mul_f64 v[28:29], v[28:29], s[2:3]
	v_fma_f64 v[84:85], v[22:23], s[6:7], v[84:85]
	s_delay_alu instid0(VALU_DEP_3) | instskip(NEXT) | instid1(VALU_DEP_3)
	v_fma_f64 v[40:41], v[30:31], s[0:1], v[40:41]
	v_fma_f64 v[28:29], v[30:31], s[12:13], v[28:29]
	;; [unrolled: 1-line block ×3, first 2 shown]
	s_delay_alu instid0(VALU_DEP_2) | instskip(NEXT) | instid1(VALU_DEP_2)
	v_add_f64 v[158:159], v[42:43], v[28:29]
	v_fma_f64 v[30:31], v[44:45], s[0:1], v[30:31]
	v_add_f64 v[148:149], v[42:43], -v[28:29]
	v_fma_f64 v[28:29], v[134:135], s[10:11], v[96:97]
	v_add_f64 v[42:43], v[118:119], v[34:35]
	s_delay_alu instid0(VALU_DEP_4) | instskip(NEXT) | instid1(VALU_DEP_3)
	v_fma_f64 v[30:31], v[38:39], s[6:7], v[30:31]
	v_fma_f64 v[28:29], v[144:145], s[2:3], v[28:29]
	s_delay_alu instid0(VALU_DEP_2) | instskip(SKIP_2) | instid1(VALU_DEP_4)
	v_add_f64 v[156:157], v[30:31], v[40:41]
	v_add_f64 v[146:147], v[30:31], -v[40:41]
	v_fma_f64 v[30:31], v[128:129], s[14:15], v[92:93]
	v_fma_f64 v[28:29], v[60:61], s[6:7], v[28:29]
	v_add_f64 v[40:41], v[120:121], v[32:33]
	s_delay_alu instid0(VALU_DEP_3) | instskip(NEXT) | instid1(VALU_DEP_3)
	v_fma_f64 v[30:31], v[140:141], s[0:1], v[30:31]
	v_mul_f64 v[32:33], v[28:29], s[10:11]
	s_delay_alu instid0(VALU_DEP_2) | instskip(NEXT) | instid1(VALU_DEP_1)
	v_fma_f64 v[30:31], v[58:59], s[6:7], v[30:31]
	v_fma_f64 v[62:63], v[30:31], s[6:7], v[32:33]
	v_mul_f64 v[30:31], v[30:31], s[14:15]
	v_fma_f64 v[32:33], v[46:47], s[10:11], v[88:89]
	s_delay_alu instid0(VALU_DEP_2) | instskip(SKIP_1) | instid1(VALU_DEP_3)
	v_fma_f64 v[30:31], v[28:29], s[6:7], v[30:31]
	v_fma_f64 v[28:29], v[44:45], s[14:15], v[82:83]
	;; [unrolled: 1-line block ×3, first 2 shown]
	s_delay_alu instid0(VALU_DEP_2) | instskip(NEXT) | instid1(VALU_DEP_2)
	v_fma_f64 v[28:29], v[48:49], s[0:1], v[28:29]
	v_fma_f64 v[64:65], v[42:43], s[6:7], v[32:33]
	s_delay_alu instid0(VALU_DEP_2) | instskip(NEXT) | instid1(VALU_DEP_2)
	v_fma_f64 v[28:29], v[40:41], s[6:7], v[28:29]
	v_add_f64 v[34:35], v[64:65], v[30:31]
	v_add_f64 v[30:31], v[64:65], -v[30:31]
	s_delay_alu instid0(VALU_DEP_3) | instskip(SKIP_2) | instid1(VALU_DEP_1)
	v_add_f64 v[32:33], v[28:29], v[62:63]
	v_add_f64 v[28:29], v[28:29], -v[62:63]
	v_fma_f64 v[62:63], v[44:45], s[10:11], v[82:83]
	v_fma_f64 v[62:63], v[48:49], s[2:3], v[62:63]
	;; [unrolled: 1-line block ×3, first 2 shown]
	v_add_f64 v[76:77], v[172:173], v[188:189]
	s_delay_alu instid0(VALU_DEP_3) | instskip(SKIP_1) | instid1(VALU_DEP_4)
	v_fma_f64 v[62:63], v[40:41], s[6:7], v[62:63]
	v_fma_f64 v[40:41], v[46:47], s[14:15], v[88:89]
	;; [unrolled: 1-line block ×4, first 2 shown]
	s_delay_alu instid0(VALU_DEP_3) | instskip(SKIP_1) | instid1(VALU_DEP_4)
	v_fma_f64 v[40:41], v[50:51], s[0:1], v[40:41]
	v_fma_f64 v[50:51], v[50:51], s[10:11], v[86:87]
	;; [unrolled: 1-line block ×3, first 2 shown]
	s_delay_alu instid0(VALU_DEP_4) | instskip(NEXT) | instid1(VALU_DEP_4)
	v_fma_f64 v[88:89], v[170:171], s[0:1], v[88:89]
	v_fma_f64 v[64:65], v[42:43], s[6:7], v[40:41]
	;; [unrolled: 1-line block ×5, first 2 shown]
	s_delay_alu instid0(VALU_DEP_3) | instskip(NEXT) | instid1(VALU_DEP_3)
	v_fma_f64 v[40:41], v[140:141], s[2:3], v[40:41]
	v_fma_f64 v[42:43], v[144:145], s[0:1], v[42:43]
	s_delay_alu instid0(VALU_DEP_3) | instskip(NEXT) | instid1(VALU_DEP_3)
	v_fma_f64 v[46:47], v[52:53], s[6:7], v[46:47]
	v_fma_f64 v[40:41], v[58:59], s[6:7], v[40:41]
	s_delay_alu instid0(VALU_DEP_3) | instskip(NEXT) | instid1(VALU_DEP_2)
	v_fma_f64 v[42:43], v[60:61], s[6:7], v[42:43]
	v_mul_f64 v[58:59], v[40:41], s[6:7]
	s_delay_alu instid0(VALU_DEP_1) | instskip(SKIP_1) | instid1(VALU_DEP_2)
	v_fma_f64 v[58:59], v[42:43], s[10:11], -v[58:59]
	v_mul_f64 v[42:43], v[42:43], s[6:7]
	v_add_f64 v[116:117], v[62:63], -v[58:59]
	s_delay_alu instid0(VALU_DEP_2) | instskip(SKIP_3) | instid1(VALU_DEP_4)
	v_fma_f64 v[60:61], v[40:41], s[14:15], -v[42:43]
	v_add_f64 v[40:41], v[62:63], v[58:59]
	v_fma_f64 v[58:59], v[140:141], s[14:15], v[90:91]
	v_fma_f64 v[90:91], v[220:221], s[10:11], v[200:201]
	v_add_f64 v[42:43], v[64:65], v[60:61]
	v_add_f64 v[118:119], v[64:65], -v[60:61]
	v_fma_f64 v[60:61], v[144:145], s[10:11], v[94:95]
	v_fma_f64 v[58:59], v[128:129], s[2:3], v[58:59]
	;; [unrolled: 1-line block ×3, first 2 shown]
	s_delay_alu instid0(VALU_DEP_3) | instskip(NEXT) | instid1(VALU_DEP_3)
	v_fma_f64 v[48:49], v[134:135], s[0:1], v[60:61]
	v_fma_f64 v[50:51], v[54:55], s[6:7], v[58:59]
	s_delay_alu instid0(VALU_DEP_2) | instskip(NEXT) | instid1(VALU_DEP_2)
	v_fma_f64 v[44:45], v[56:57], s[6:7], v[48:49]
	v_mul_f64 v[48:49], v[50:51], s[12:13]
	s_delay_alu instid0(VALU_DEP_1) | instskip(SKIP_1) | instid1(VALU_DEP_2)
	v_fma_f64 v[52:53], v[44:45], s[0:1], -v[48:49]
	v_mul_f64 v[44:45], v[44:45], s[12:13]
	v_add_f64 v[48:49], v[38:39], v[52:53]
	s_delay_alu instid0(VALU_DEP_2) | instskip(SKIP_3) | instid1(VALU_DEP_4)
	v_fma_f64 v[54:55], v[50:51], s[2:3], -v[44:45]
	v_add_f64 v[44:45], v[38:39], -v[52:53]
	v_fma_f64 v[52:53], v[216:217], s[10:11], v[178:179]
	v_add_f64 v[38:39], v[164:165], v[184:185]
	v_add_f64 v[50:51], v[46:47], v[54:55]
	v_add_f64 v[46:47], v[46:47], -v[54:55]
	s_delay_alu instid0(VALU_DEP_4) | instskip(SKIP_1) | instid1(VALU_DEP_2)
	v_fma_f64 v[52:53], v[202:203], s[0:1], v[52:53]
	v_fma_f64 v[54:55], v[220:221], s[14:15], v[200:201]
	;; [unrolled: 1-line block ×3, first 2 shown]
	s_delay_alu instid0(VALU_DEP_2) | instskip(NEXT) | instid1(VALU_DEP_2)
	v_fma_f64 v[54:55], v[210:211], s[2:3], v[54:55]
	v_mul_f64 v[56:57], v[52:53], s[12:13]
	s_delay_alu instid0(VALU_DEP_2) | instskip(SKIP_1) | instid1(VALU_DEP_2)
	v_fma_f64 v[54:55], v[80:81], s[6:7], v[54:55]
	v_mul_f64 v[52:53], v[52:53], s[2:3]
	v_fma_f64 v[60:61], v[54:55], s[0:1], v[56:57]
	s_delay_alu instid0(VALU_DEP_2) | instskip(SKIP_2) | instid1(VALU_DEP_2)
	v_fma_f64 v[54:55], v[54:55], s[12:13], v[52:53]
	v_fma_f64 v[52:53], v[176:177], s[10:11], v[98:99]
	;; [unrolled: 1-line block ×4, first 2 shown]
	s_delay_alu instid0(VALU_DEP_2) | instskip(NEXT) | instid1(VALU_DEP_2)
	v_fma_f64 v[56:57], v[170:171], s[2:3], v[56:57]
	v_fma_f64 v[52:53], v[38:39], s[6:7], v[52:53]
	s_delay_alu instid0(VALU_DEP_2) | instskip(NEXT) | instid1(VALU_DEP_2)
	v_fma_f64 v[62:63], v[76:77], s[6:7], v[56:57]
	v_add_f64 v[56:57], v[52:53], v[60:61]
	v_add_f64 v[52:53], v[52:53], -v[60:61]
	v_fma_f64 v[60:61], v[210:211], s[10:11], v[208:209]
	s_delay_alu instid0(VALU_DEP_4) | instskip(SKIP_2) | instid1(VALU_DEP_4)
	v_add_f64 v[58:59], v[62:63], v[54:55]
	v_add_f64 v[54:55], v[62:63], -v[54:55]
	v_fma_f64 v[62:63], v[202:203], s[14:15], v[182:183]
	v_fma_f64 v[60:61], v[220:221], s[2:3], v[60:61]
	s_delay_alu instid0(VALU_DEP_2) | instskip(NEXT) | instid1(VALU_DEP_2)
	v_fma_f64 v[62:63], v[216:217], s[0:1], v[62:63]
	v_fma_f64 v[60:61], v[74:75], s[6:7], v[60:61]
	s_delay_alu instid0(VALU_DEP_2) | instskip(NEXT) | instid1(VALU_DEP_2)
	v_fma_f64 v[62:63], v[72:73], s[6:7], v[62:63]
	v_mul_f64 v[64:65], v[60:61], s[10:11]
	s_delay_alu instid0(VALU_DEP_1) | instskip(SKIP_2) | instid1(VALU_DEP_2)
	v_fma_f64 v[82:83], v[62:63], s[6:7], v[64:65]
	v_mul_f64 v[62:63], v[62:63], s[14:15]
	v_fma_f64 v[64:65], v[170:171], s[10:11], v[168:169]
	v_fma_f64 v[62:63], v[60:61], s[6:7], v[62:63]
	;; [unrolled: 1-line block ×3, first 2 shown]
	s_delay_alu instid0(VALU_DEP_3) | instskip(NEXT) | instid1(VALU_DEP_2)
	v_fma_f64 v[64:65], v[180:181], s[2:3], v[64:65]
	v_fma_f64 v[60:61], v[176:177], s[0:1], v[60:61]
	s_delay_alu instid0(VALU_DEP_2) | instskip(NEXT) | instid1(VALU_DEP_2)
	v_fma_f64 v[86:87], v[70:71], s[6:7], v[64:65]
	v_fma_f64 v[60:61], v[68:69], s[6:7], v[60:61]
	s_delay_alu instid0(VALU_DEP_2) | instskip(SKIP_1) | instid1(VALU_DEP_3)
	v_add_f64 v[66:67], v[86:87], v[62:63]
	v_add_f64 v[62:63], v[86:87], -v[62:63]
	v_add_f64 v[64:65], v[60:61], v[82:83]
	v_add_f64 v[60:61], v[60:61], -v[82:83]
	v_fma_f64 v[82:83], v[162:163], s[10:11], v[142:143]
	s_delay_alu instid0(VALU_DEP_1) | instskip(NEXT) | instid1(VALU_DEP_1)
	v_fma_f64 v[82:83], v[176:177], s[2:3], v[82:83]
	v_fma_f64 v[68:69], v[68:69], s[6:7], v[82:83]
	v_fma_f64 v[82:83], v[170:171], s[14:15], v[168:169]
	s_delay_alu instid0(VALU_DEP_1) | instskip(NEXT) | instid1(VALU_DEP_1)
	v_fma_f64 v[82:83], v[180:181], s[0:1], v[82:83]
	v_fma_f64 v[70:71], v[70:71], s[6:7], v[82:83]
	;; [unrolled: 4-line block ×4, first 2 shown]
	s_delay_alu instid0(VALU_DEP_4) | instskip(NEXT) | instid1(VALU_DEP_1)
	v_mul_f64 v[82:83], v[72:73], s[6:7]
	v_fma_f64 v[82:83], v[74:75], s[10:11], -v[82:83]
	v_mul_f64 v[74:75], v[74:75], s[6:7]
	s_delay_alu instid0(VALU_DEP_1) | instskip(NEXT) | instid1(VALU_DEP_3)
	v_fma_f64 v[86:87], v[72:73], s[14:15], -v[74:75]
	v_add_f64 v[72:73], v[68:69], v[82:83]
	v_add_f64 v[68:69], v[68:69], -v[82:83]
	v_fma_f64 v[82:83], v[216:217], s[14:15], v[178:179]
	s_delay_alu instid0(VALU_DEP_4) | instskip(SKIP_2) | instid1(VALU_DEP_4)
	v_add_f64 v[74:75], v[70:71], v[86:87]
	v_add_f64 v[70:71], v[70:71], -v[86:87]
	v_fma_f64 v[86:87], v[176:177], s[14:15], v[98:99]
	v_fma_f64 v[82:83], v[202:203], s[2:3], v[82:83]
	s_delay_alu instid0(VALU_DEP_2) | instskip(NEXT) | instid1(VALU_DEP_2)
	v_fma_f64 v[86:87], v[162:163], s[2:3], v[86:87]
	v_fma_f64 v[78:79], v[78:79], s[6:7], v[82:83]
	s_delay_alu instid0(VALU_DEP_2) | instskip(SKIP_2) | instid1(VALU_DEP_4)
	v_fma_f64 v[38:39], v[38:39], s[6:7], v[86:87]
	v_fma_f64 v[86:87], v[76:77], s[6:7], v[88:89]
	;; [unrolled: 1-line block ×3, first 2 shown]
	v_mul_f64 v[80:81], v[78:79], s[12:13]
	s_delay_alu instid0(VALU_DEP_1) | instskip(SKIP_1) | instid1(VALU_DEP_2)
	v_fma_f64 v[88:89], v[76:77], s[0:1], -v[80:81]
	v_mul_f64 v[76:77], v[76:77], s[12:13]
	v_add_f64 v[80:81], v[38:39], v[88:89]
	s_delay_alu instid0(VALU_DEP_2)
	v_fma_f64 v[78:79], v[78:79], s[2:3], -v[76:77]
	v_add_f64 v[76:77], v[38:39], -v[88:89]
	v_mul_f64 v[88:89], v[84:85], s[12:13]
	v_mul_f64 v[84:85], v[84:85], s[2:3]
	v_add_f64 v[38:39], v[228:229], v[196:197]
	v_add_f64 v[82:83], v[86:87], v[78:79]
	v_add_f64 v[78:79], v[86:87], -v[78:79]
	v_fma_f64 v[86:87], v[20:21], s[14:15], v[4:5]
	v_fma_f64 v[4:5], v[20:21], s[10:11], v[4:5]
	s_delay_alu instid0(VALU_DEP_2) | instskip(NEXT) | instid1(VALU_DEP_2)
	v_fma_f64 v[86:87], v[106:107], s[2:3], v[86:87]
	v_fma_f64 v[4:5], v[106:107], s[0:1], v[4:5]
	s_delay_alu instid0(VALU_DEP_2) | instskip(NEXT) | instid1(VALU_DEP_2)
	v_fma_f64 v[86:87], v[114:115], s[6:7], v[86:87]
	v_fma_f64 v[4:5], v[114:115], s[6:7], v[4:5]
	s_delay_alu instid0(VALU_DEP_2) | instskip(SKIP_3) | instid1(VALU_DEP_2)
	v_fma_f64 v[92:93], v[86:87], s[0:1], v[88:89]
	v_fma_f64 v[86:87], v[86:87], s[12:13], v[84:85]
	;; [unrolled: 1-line block ×5, first 2 shown]
	s_delay_alu instid0(VALU_DEP_2) | instskip(NEXT) | instid1(VALU_DEP_2)
	v_fma_f64 v[88:89], v[234:235], s[2:3], v[88:89]
	v_fma_f64 v[84:85], v[38:39], s[6:7], v[84:85]
	s_delay_alu instid0(VALU_DEP_2) | instskip(NEXT) | instid1(VALU_DEP_2)
	v_fma_f64 v[94:95], v[112:113], s[6:7], v[88:89]
	v_add_f64 v[88:89], v[84:85], v[92:93]
	v_add_f64 v[84:85], v[84:85], -v[92:93]
	v_fma_f64 v[92:93], v[106:107], s[10:11], v[6:7]
	s_delay_alu instid0(VALU_DEP_4)
	v_add_f64 v[90:91], v[94:95], v[86:87]
	v_add_f64 v[86:87], v[94:95], -v[86:87]
	v_fma_f64 v[94:95], v[250:251], s[14:15], v[36:37]
	v_fma_f64 v[36:37], v[250:251], s[10:11], v[36:37]
	v_fma_f64 v[6:7], v[106:107], s[14:15], v[6:7]
	v_fma_f64 v[92:93], v[20:21], s[2:3], v[92:93]
	s_delay_alu instid0(VALU_DEP_4) | instskip(NEXT) | instid1(VALU_DEP_4)
	v_fma_f64 v[94:95], v[110:111], s[0:1], v[94:95]
	v_fma_f64 v[36:37], v[110:111], s[2:3], v[36:37]
	s_delay_alu instid0(VALU_DEP_4) | instskip(NEXT) | instid1(VALU_DEP_4)
	v_fma_f64 v[6:7], v[20:21], s[0:1], v[6:7]
	v_fma_f64 v[92:93], v[24:25], s[6:7], v[92:93]
	s_delay_alu instid0(VALU_DEP_4) | instskip(NEXT) | instid1(VALU_DEP_4)
	v_fma_f64 v[94:95], v[26:27], s[6:7], v[94:95]
	v_fma_f64 v[26:27], v[26:27], s[6:7], v[36:37]
	s_delay_alu instid0(VALU_DEP_4) | instskip(NEXT) | instid1(VALU_DEP_4)
	v_fma_f64 v[6:7], v[24:25], s[6:7], v[6:7]
	v_mul_f64 v[96:97], v[92:93], s[10:11]
	s_delay_alu instid0(VALU_DEP_3) | instskip(NEXT) | instid1(VALU_DEP_2)
	v_mul_f64 v[24:25], v[26:27], s[6:7]
	v_fma_f64 v[108:109], v[94:95], s[6:7], v[96:97]
	v_fma_f64 v[96:97], v[234:235], s[10:11], v[0:1]
	;; [unrolled: 1-line block ×3, first 2 shown]
	v_mul_f64 v[94:95], v[94:95], s[14:15]
	v_fma_f64 v[24:25], v[6:7], s[10:11], -v[24:25]
	v_mul_f64 v[6:7], v[6:7], s[6:7]
	v_fma_f64 v[96:97], v[242:243], s[2:3], v[96:97]
	v_fma_f64 v[0:1], v[242:243], s[0:1], v[0:1]
	;; [unrolled: 1-line block ×4, first 2 shown]
	v_fma_f64 v[6:7], v[26:27], s[14:15], -v[6:7]
	v_fma_f64 v[120:121], v[102:103], s[6:7], v[96:97]
	v_fma_f64 v[0:1], v[102:103], s[6:7], v[0:1]
	s_delay_alu instid0(VALU_DEP_4) | instskip(NEXT) | instid1(VALU_DEP_3)
	v_fma_f64 v[92:93], v[240:241], s[0:1], v[92:93]
	v_add_f64 v[98:99], v[120:121], v[94:95]
	s_delay_alu instid0(VALU_DEP_3)
	v_add_f64 v[130:131], v[0:1], v[6:7]
	v_add_f64 v[102:103], v[0:1], -v[6:7]
	v_fma_f64 v[0:1], v[110:111], s[14:15], v[2:3]
	v_fma_f64 v[6:7], v[242:243], s[10:11], v[232:233]
	;; [unrolled: 1-line block ×4, first 2 shown]
	v_add_f64 v[94:95], v[120:121], -v[94:95]
	v_fma_f64 v[0:1], v[250:251], s[2:3], v[0:1]
	v_fma_f64 v[6:7], v[234:235], s[0:1], v[6:7]
	;; [unrolled: 1-line block ×3, first 2 shown]
	v_add_f64 v[96:97], v[92:93], v[108:109]
	v_add_f64 v[92:93], v[92:93], -v[108:109]
	v_fma_f64 v[108:109], v[226:227], s[10:11], v[224:225]
	v_fma_f64 v[0:1], v[22:23], s[6:7], v[0:1]
	;; [unrolled: 1-line block ×4, first 2 shown]
	s_delay_alu instid0(VALU_DEP_4) | instskip(NEXT) | instid1(VALU_DEP_4)
	v_fma_f64 v[108:109], v[240:241], s[2:3], v[108:109]
	v_mul_f64 v[20:21], v[0:1], s[12:13]
	s_delay_alu instid0(VALU_DEP_2) | instskip(SKIP_2) | instid1(VALU_DEP_2)
	v_fma_f64 v[100:101], v[100:101], s[6:7], v[108:109]
	s_mov_b32 s6, 0xe8584caa
	s_mov_b32 s7, 0x3febb67a
	v_fma_f64 v[20:21], v[4:5], s[0:1], -v[20:21]
	v_mul_f64 v[4:5], v[4:5], s[12:13]
	v_cmp_gt_u32_e64 s0, 60, v104
	s_delay_alu instid0(VALU_DEP_4)
	v_add_f64 v[128:129], v[100:101], v[24:25]
	v_add_f64 v[100:101], v[100:101], -v[24:25]
	v_add_f64 v[132:133], v[2:3], v[20:21]
	v_fma_f64 v[0:1], v[0:1], s[2:3], -v[4:5]
	v_add_f64 v[136:137], v[2:3], -v[20:21]
	s_mov_b32 s3, 0xbfebb67a
	s_mov_b32 s2, s6
	s_delay_alu instid0(VALU_DEP_2) | instskip(SKIP_2) | instid1(VALU_DEP_1)
	v_add_f64 v[134:135], v[6:7], v[0:1]
	v_add_f64 v[138:139], v[6:7], -v[0:1]
	v_mul_u32_u24_e32 v0, 10, v104
	v_lshl_add_u32 v0, v0, 4, 0
	ds_store_b128 v0, v[124:127]
	ds_store_b128 v0, v[156:159] offset:16
	ds_store_b128 v0, v[32:35] offset:32
	;; [unrolled: 1-line block ×13, first 2 shown]
	scratch_load_b128 v[1:4], off, off offset:64 ; 16-byte Folded Reload
	s_waitcnt vmcnt(0)
	ds_store_b128 v0, v[1:4] offset:15440
	ds_store_b128 v0, v[80:83] offset:15424
	;; [unrolled: 1-line block ×11, first 2 shown]
	v_and_b32_e32 v1, 0xff, v104
	ds_store_b128 v0, v[132:135] offset:30784
	ds_store_b128 v0, v[84:87] offset:30816
	;; [unrolled: 1-line block ×5, first 2 shown]
	s_waitcnt lgkmcnt(0)
	s_barrier
	buffer_gl0_inv
	v_mul_lo_u16 v1, 0xcd, v1
	v_add_nc_u16 v53, v104, 0x60
	v_add_nc_u32_e32 v52, 0x120, v104
	s_delay_alu instid0(VALU_DEP_3) | instskip(NEXT) | instid1(VALU_DEP_3)
	v_lshrrev_b16 v59, 11, v1
	v_and_b32_e32 v55, 0xff, v53
	s_delay_alu instid0(VALU_DEP_3) | instskip(NEXT) | instid1(VALU_DEP_3)
	v_and_b32_e32 v57, 0xffff, v52
	v_mul_lo_u16 v1, v59, 10
	s_delay_alu instid0(VALU_DEP_1) | instskip(NEXT) | instid1(VALU_DEP_1)
	v_sub_nc_u16 v1, v104, v1
	v_and_b32_e32 v60, 0xff, v1
	v_add_nc_u32_e32 v54, 0xc0, v104
	s_delay_alu instid0(VALU_DEP_2) | instskip(NEXT) | instid1(VALU_DEP_2)
	v_mul_u32_u24_e32 v1, 5, v60
	v_and_b32_e32 v56, 0xffff, v54
	s_delay_alu instid0(VALU_DEP_2)
	v_lshlrev_b32_e32 v16, 4, v1
	s_clause 0x1
	global_load_b128 v[4:7], v16, s[4:5]
	global_load_b128 v[8:11], v16, s[4:5] offset:16
	ds_load_b128 v[12:15], v123 offset:7680
	ds_load_b128 v[0:3], v123 offset:6144
	s_waitcnt vmcnt(1) lgkmcnt(1)
	v_mul_f64 v[17:18], v[14:15], v[6:7]
	v_mul_f64 v[6:7], v[12:13], v[6:7]
	s_delay_alu instid0(VALU_DEP_2) | instskip(NEXT) | instid1(VALU_DEP_2)
	v_fma_f64 v[73:74], v[12:13], v[4:5], -v[17:18]
	v_fma_f64 v[75:76], v[14:15], v[4:5], v[6:7]
	ds_load_b128 v[4:7], v123 offset:15360
	ds_load_b128 v[12:15], v123 offset:16896
	s_waitcnt vmcnt(0) lgkmcnt(1)
	v_mul_f64 v[17:18], v[6:7], v[10:11]
	s_delay_alu instid0(VALU_DEP_1) | instskip(SKIP_1) | instid1(VALU_DEP_1)
	v_fma_f64 v[77:78], v[4:5], v[8:9], -v[17:18]
	v_mul_f64 v[4:5], v[4:5], v[10:11]
	v_fma_f64 v[79:80], v[6:7], v[8:9], v[4:5]
	s_clause 0x1
	global_load_b128 v[4:7], v16, s[4:5] offset:32
	global_load_b128 v[8:11], v16, s[4:5] offset:48
	ds_load_b128 v[17:20], v123 offset:23040
	ds_load_b128 v[21:24], v123 offset:21504
	s_waitcnt vmcnt(1) lgkmcnt(1)
	v_mul_f64 v[25:26], v[19:20], v[6:7]
	v_mul_f64 v[6:7], v[17:18], v[6:7]
	s_delay_alu instid0(VALU_DEP_2) | instskip(NEXT) | instid1(VALU_DEP_2)
	v_fma_f64 v[81:82], v[17:18], v[4:5], -v[25:26]
	v_fma_f64 v[83:84], v[19:20], v[4:5], v[6:7]
	ds_load_b128 v[4:7], v123 offset:30720
	ds_load_b128 v[17:20], v123 offset:32256
	s_waitcnt vmcnt(0) lgkmcnt(1)
	v_mul_f64 v[25:26], v[6:7], v[10:11]
	s_delay_alu instid0(VALU_DEP_1) | instskip(SKIP_1) | instid1(VALU_DEP_1)
	v_fma_f64 v[85:86], v[4:5], v[8:9], -v[25:26]
	v_mul_f64 v[4:5], v[4:5], v[10:11]
	v_fma_f64 v[87:88], v[6:7], v[8:9], v[4:5]
	v_mul_lo_u16 v4, 0xcd, v55
	s_delay_alu instid0(VALU_DEP_1) | instskip(NEXT) | instid1(VALU_DEP_1)
	v_lshrrev_b16 v103, 11, v4
	v_mul_lo_u16 v4, v103, 10
	s_delay_alu instid0(VALU_DEP_1) | instskip(NEXT) | instid1(VALU_DEP_1)
	v_sub_nc_u16 v4, v53, v4
	v_and_b32_e32 v122, 0xff, v4
	s_delay_alu instid0(VALU_DEP_1) | instskip(NEXT) | instid1(VALU_DEP_1)
	v_mul_u32_u24_e32 v4, 5, v122
	v_lshlrev_b32_e32 v31, 4, v4
	s_clause 0x1
	global_load_b128 v[4:7], v16, s[4:5] offset:64
	global_load_b128 v[8:11], v31, s[4:5]
	ds_load_b128 v[25:28], v123 offset:38400
	ds_load_b128 v[65:68], v123 offset:36864
	s_waitcnt vmcnt(1) lgkmcnt(1)
	v_mul_f64 v[29:30], v[27:28], v[6:7]
	v_mul_f64 v[6:7], v[25:26], v[6:7]
	s_delay_alu instid0(VALU_DEP_2) | instskip(NEXT) | instid1(VALU_DEP_2)
	v_fma_f64 v[89:90], v[25:26], v[4:5], -v[29:30]
	v_fma_f64 v[91:92], v[27:28], v[4:5], v[6:7]
	ds_load_b128 v[4:7], v123 offset:9216
	ds_load_b128 v[25:28], v123 offset:10752
	s_waitcnt vmcnt(0) lgkmcnt(1)
	v_mul_f64 v[29:30], v[6:7], v[10:11]
	s_delay_alu instid0(VALU_DEP_1) | instskip(SKIP_1) | instid1(VALU_DEP_1)
	v_fma_f64 v[93:94], v[4:5], v[8:9], -v[29:30]
	v_mul_f64 v[4:5], v[4:5], v[10:11]
	v_fma_f64 v[95:96], v[6:7], v[8:9], v[4:5]
	s_clause 0x1
	global_load_b128 v[4:7], v31, s[4:5] offset:16
	global_load_b128 v[8:11], v31, s[4:5] offset:32
	s_waitcnt vmcnt(1)
	v_mul_f64 v[29:30], v[14:15], v[6:7]
	v_mul_f64 v[6:7], v[12:13], v[6:7]
	s_delay_alu instid0(VALU_DEP_2) | instskip(NEXT) | instid1(VALU_DEP_2)
	v_fma_f64 v[97:98], v[12:13], v[4:5], -v[29:30]
	v_fma_f64 v[99:100], v[14:15], v[4:5], v[6:7]
	ds_load_b128 v[4:7], v123 offset:24576
	ds_load_b128 v[12:15], v123 offset:26112
	s_waitcnt vmcnt(0) lgkmcnt(1)
	v_mul_f64 v[29:30], v[6:7], v[10:11]
	s_delay_alu instid0(VALU_DEP_1) | instskip(SKIP_1) | instid1(VALU_DEP_1)
	v_fma_f64 v[101:102], v[4:5], v[8:9], -v[29:30]
	v_mul_f64 v[4:5], v[4:5], v[10:11]
	v_fma_f64 v[106:107], v[6:7], v[8:9], v[4:5]
	s_clause 0x1
	global_load_b128 v[4:7], v31, s[4:5] offset:48
	global_load_b128 v[8:11], v31, s[4:5] offset:64
	s_waitcnt vmcnt(1)
	v_mul_f64 v[29:30], v[19:20], v[6:7]
	v_mul_f64 v[6:7], v[17:18], v[6:7]
	s_delay_alu instid0(VALU_DEP_2) | instskip(NEXT) | instid1(VALU_DEP_2)
	v_fma_f64 v[108:109], v[17:18], v[4:5], -v[29:30]
	v_fma_f64 v[110:111], v[19:20], v[4:5], v[6:7]
	ds_load_b128 v[4:7], v123 offset:39936
	ds_load_b128 v[16:19], v123 offset:41472
	s_waitcnt vmcnt(0) lgkmcnt(1)
	v_mul_f64 v[29:30], v[6:7], v[10:11]
	s_delay_alu instid0(VALU_DEP_1) | instskip(SKIP_1) | instid1(VALU_DEP_1)
	v_fma_f64 v[112:113], v[4:5], v[8:9], -v[29:30]
	v_mul_f64 v[4:5], v[4:5], v[10:11]
	v_fma_f64 v[114:115], v[6:7], v[8:9], v[4:5]
	v_mul_u32_u24_e32 v4, 0xcccd, v56
	s_delay_alu instid0(VALU_DEP_1) | instskip(NEXT) | instid1(VALU_DEP_1)
	v_lshrrev_b32_e32 v142, 19, v4
	v_mul_lo_u16 v4, v142, 10
	s_delay_alu instid0(VALU_DEP_1) | instskip(NEXT) | instid1(VALU_DEP_1)
	v_sub_nc_u16 v4, v54, v4
	v_and_b32_e32 v143, 0xffff, v4
	s_delay_alu instid0(VALU_DEP_1) | instskip(NEXT) | instid1(VALU_DEP_1)
	v_mul_u32_u24_e32 v4, 5, v143
	v_lshlrev_b32_e32 v20, 4, v4
	s_clause 0x1
	global_load_b128 v[4:7], v20, s[4:5]
	global_load_b128 v[8:11], v20, s[4:5] offset:16
	s_waitcnt vmcnt(1)
	v_mul_f64 v[29:30], v[27:28], v[6:7]
	v_mul_f64 v[6:7], v[25:26], v[6:7]
	s_delay_alu instid0(VALU_DEP_2) | instskip(NEXT) | instid1(VALU_DEP_2)
	v_fma_f64 v[116:117], v[25:26], v[4:5], -v[29:30]
	v_fma_f64 v[118:119], v[27:28], v[4:5], v[6:7]
	ds_load_b128 v[4:7], v123 offset:18432
	ds_load_b128 v[28:31], v123 offset:19968
	s_waitcnt vmcnt(0) lgkmcnt(1)
	v_mul_f64 v[25:26], v[6:7], v[10:11]
	s_delay_alu instid0(VALU_DEP_1) | instskip(SKIP_1) | instid1(VALU_DEP_1)
	v_fma_f64 v[120:121], v[4:5], v[8:9], -v[25:26]
	v_mul_f64 v[4:5], v[4:5], v[10:11]
	v_fma_f64 v[124:125], v[6:7], v[8:9], v[4:5]
	s_clause 0x1
	global_load_b128 v[4:7], v20, s[4:5] offset:32
	global_load_b128 v[8:11], v20, s[4:5] offset:48
	s_waitcnt vmcnt(1)
	v_mul_f64 v[25:26], v[14:15], v[6:7]
	v_mul_f64 v[6:7], v[12:13], v[6:7]
	s_delay_alu instid0(VALU_DEP_2) | instskip(NEXT) | instid1(VALU_DEP_2)
	v_fma_f64 v[126:127], v[12:13], v[4:5], -v[25:26]
	v_fma_f64 v[128:129], v[14:15], v[4:5], v[6:7]
	ds_load_b128 v[4:7], v123 offset:33792
	ds_load_b128 v[12:15], v123 offset:35328
	s_waitcnt vmcnt(0) lgkmcnt(1)
	v_mul_f64 v[25:26], v[6:7], v[10:11]
	s_delay_alu instid0(VALU_DEP_1) | instskip(SKIP_1) | instid1(VALU_DEP_1)
	v_fma_f64 v[130:131], v[4:5], v[8:9], -v[25:26]
	v_mul_f64 v[4:5], v[4:5], v[10:11]
	v_fma_f64 v[132:133], v[6:7], v[8:9], v[4:5]
	v_mul_u32_u24_e32 v4, 0xcccd, v57
	s_delay_alu instid0(VALU_DEP_1) | instskip(NEXT) | instid1(VALU_DEP_1)
	v_lshrrev_b32_e32 v63, 19, v4
	v_mul_lo_u16 v4, v63, 10
	s_delay_alu instid0(VALU_DEP_1) | instskip(NEXT) | instid1(VALU_DEP_1)
	v_sub_nc_u16 v4, v52, v4
	v_and_b32_e32 v64, 0xffff, v4
	s_delay_alu instid0(VALU_DEP_1) | instskip(NEXT) | instid1(VALU_DEP_1)
	v_mul_u32_u24_e32 v4, 5, v64
	v_lshlrev_b32_e32 v44, 4, v4
	s_clause 0x1
	global_load_b128 v[4:7], v20, s[4:5] offset:64
	global_load_b128 v[8:11], v44, s[4:5]
	s_waitcnt vmcnt(1)
	v_mul_f64 v[25:26], v[18:19], v[6:7]
	v_mul_f64 v[6:7], v[16:17], v[6:7]
	s_delay_alu instid0(VALU_DEP_2) | instskip(NEXT) | instid1(VALU_DEP_2)
	v_fma_f64 v[134:135], v[16:17], v[4:5], -v[25:26]
	v_fma_f64 v[136:137], v[18:19], v[4:5], v[6:7]
	ds_load_b128 v[4:7], v123 offset:12288
	ds_load_b128 v[16:19], v123 offset:13824
	s_waitcnt vmcnt(0) lgkmcnt(1)
	v_mul_f64 v[25:26], v[6:7], v[10:11]
	s_delay_alu instid0(VALU_DEP_1) | instskip(SKIP_1) | instid1(VALU_DEP_1)
	v_fma_f64 v[26:27], v[4:5], v[8:9], -v[25:26]
	v_mul_f64 v[4:5], v[4:5], v[10:11]
	v_fma_f64 v[32:33], v[6:7], v[8:9], v[4:5]
	s_clause 0x1
	global_load_b128 v[4:7], v44, s[4:5] offset:16
	global_load_b128 v[8:11], v44, s[4:5] offset:32
	s_waitcnt vmcnt(1)
	v_mul_f64 v[34:35], v[30:31], v[6:7]
	v_mul_f64 v[6:7], v[28:29], v[6:7]
	s_delay_alu instid0(VALU_DEP_2) | instskip(NEXT) | instid1(VALU_DEP_2)
	v_fma_f64 v[36:37], v[28:29], v[4:5], -v[34:35]
	v_fma_f64 v[38:39], v[30:31], v[4:5], v[6:7]
	ds_load_b128 v[4:7], v123 offset:27648
	ds_load_b128 v[28:31], v123 offset:29184
	s_waitcnt vmcnt(0) lgkmcnt(1)
	v_mul_f64 v[34:35], v[6:7], v[10:11]
	s_delay_alu instid0(VALU_DEP_1) | instskip(SKIP_1) | instid1(VALU_DEP_1)
	v_fma_f64 v[42:43], v[4:5], v[8:9], -v[34:35]
	v_mul_f64 v[4:5], v[4:5], v[10:11]
	v_fma_f64 v[40:41], v[6:7], v[8:9], v[4:5]
	s_clause 0x1
	global_load_b128 v[4:7], v44, s[4:5] offset:48
	global_load_b128 v[8:11], v44, s[4:5] offset:64
	s_waitcnt vmcnt(1)
	v_mul_f64 v[34:35], v[14:15], v[6:7]
	v_mul_f64 v[6:7], v[12:13], v[6:7]
	s_delay_alu instid0(VALU_DEP_2) | instskip(NEXT) | instid1(VALU_DEP_2)
	v_fma_f64 v[44:45], v[12:13], v[4:5], -v[34:35]
	v_fma_f64 v[46:47], v[14:15], v[4:5], v[6:7]
	ds_load_b128 v[4:7], v123 offset:43008
	ds_load_b128 v[69:72], v123 offset:44544
	scratch_load_b64 v[144:145], off, off offset:56 ; 8-byte Folded Reload
	s_waitcnt vmcnt(1) lgkmcnt(1)
	v_mul_f64 v[12:13], v[6:7], v[10:11]
	s_delay_alu instid0(VALU_DEP_1) | instskip(SKIP_1) | instid1(VALU_DEP_1)
	v_fma_f64 v[50:51], v[4:5], v[8:9], -v[12:13]
	v_mul_f64 v[4:5], v[4:5], v[10:11]
	v_fma_f64 v[48:49], v[6:7], v[8:9], v[4:5]
	s_waitcnt vmcnt(0)
	v_and_b32_e32 v58, 0xffff, v144
	s_delay_alu instid0(VALU_DEP_1) | instskip(NEXT) | instid1(VALU_DEP_1)
	v_mul_u32_u24_e32 v4, 0xcccd, v58
	v_lshrrev_b32_e32 v61, 19, v4
	s_delay_alu instid0(VALU_DEP_1) | instskip(NEXT) | instid1(VALU_DEP_1)
	v_mul_lo_u16 v4, v61, 10
	v_sub_nc_u16 v4, v144, v4
	s_delay_alu instid0(VALU_DEP_1) | instskip(NEXT) | instid1(VALU_DEP_1)
	v_and_b32_e32 v62, 0xffff, v4
	v_mul_u32_u24_e32 v4, 5, v62
	s_delay_alu instid0(VALU_DEP_1)
	v_lshlrev_b32_e32 v34, 4, v4
	s_clause 0x1
	global_load_b128 v[4:7], v34, s[4:5]
	global_load_b128 v[8:11], v34, s[4:5] offset:16
	s_waitcnt vmcnt(1)
	v_mul_f64 v[12:13], v[18:19], v[6:7]
	v_mul_f64 v[6:7], v[16:17], v[6:7]
	s_delay_alu instid0(VALU_DEP_2) | instskip(NEXT) | instid1(VALU_DEP_2)
	v_fma_f64 v[12:13], v[16:17], v[4:5], -v[12:13]
	v_fma_f64 v[14:15], v[18:19], v[4:5], v[6:7]
	s_waitcnt vmcnt(0)
	v_mul_f64 v[4:5], v[23:24], v[10:11]
	s_delay_alu instid0(VALU_DEP_1) | instskip(SKIP_1) | instid1(VALU_DEP_1)
	v_fma_f64 v[16:17], v[21:22], v[8:9], -v[4:5]
	v_mul_f64 v[4:5], v[21:22], v[10:11]
	v_fma_f64 v[18:19], v[23:24], v[8:9], v[4:5]
	s_clause 0x1
	global_load_b128 v[4:7], v34, s[4:5] offset:32
	global_load_b128 v[8:11], v34, s[4:5] offset:48
	s_waitcnt vmcnt(1)
	v_mul_f64 v[20:21], v[30:31], v[6:7]
	v_mul_f64 v[6:7], v[28:29], v[6:7]
	s_delay_alu instid0(VALU_DEP_2) | instskip(NEXT) | instid1(VALU_DEP_2)
	v_fma_f64 v[22:23], v[28:29], v[4:5], -v[20:21]
	v_fma_f64 v[20:21], v[30:31], v[4:5], v[6:7]
	s_waitcnt vmcnt(0)
	v_mul_f64 v[4:5], v[67:68], v[10:11]
	s_delay_alu instid0(VALU_DEP_1) | instskip(SKIP_2) | instid1(VALU_DEP_2)
	v_fma_f64 v[24:25], v[65:66], v[8:9], -v[4:5]
	v_mul_f64 v[4:5], v[65:66], v[10:11]
	v_add_f64 v[65:66], v[77:78], v[85:86]
	v_fma_f64 v[28:29], v[67:68], v[8:9], v[4:5]
	global_load_b128 v[4:7], v34, s[4:5] offset:64
	s_waitcnt vmcnt(0) lgkmcnt(0)
	v_mul_f64 v[8:9], v[71:72], v[6:7]
	v_mul_f64 v[6:7], v[69:70], v[6:7]
	s_delay_alu instid0(VALU_DEP_2) | instskip(NEXT) | instid1(VALU_DEP_2)
	v_fma_f64 v[34:35], v[69:70], v[4:5], -v[8:9]
	v_fma_f64 v[30:31], v[71:72], v[4:5], v[6:7]
	ds_load_b128 v[4:7], v123
	ds_load_b128 v[8:11], v123 offset:1536
	s_waitcnt lgkmcnt(1)
	v_fma_f64 v[138:139], v[65:66], -0.5, v[4:5]
	v_add_f64 v[65:66], v[79:80], v[87:88]
	v_add_f64 v[4:5], v[4:5], v[77:78]
	s_delay_alu instid0(VALU_DEP_2) | instskip(SKIP_2) | instid1(VALU_DEP_4)
	v_fma_f64 v[140:141], v[65:66], -0.5, v[6:7]
	v_add_f64 v[65:66], v[73:74], v[81:82]
	v_add_f64 v[6:7], v[6:7], v[79:80]
	;; [unrolled: 1-line block ×3, first 2 shown]
	v_add_f64 v[85:86], v[77:78], -v[85:86]
	s_delay_alu instid0(VALU_DEP_4) | instskip(SKIP_3) | instid1(VALU_DEP_3)
	v_add_f64 v[69:70], v[65:66], v[89:90]
	v_add_f64 v[65:66], v[75:76], v[83:84]
	;; [unrolled: 1-line block ×3, first 2 shown]
	v_add_f64 v[87:88], v[79:80], -v[87:88]
	v_add_f64 v[71:72], v[65:66], v[91:92]
	v_add_f64 v[65:66], v[4:5], v[69:70]
	v_add_f64 v[69:70], v[4:5], -v[69:70]
	v_add_f64 v[4:5], v[81:82], v[89:90]
	s_delay_alu instid0(VALU_DEP_4)
	v_add_f64 v[67:68], v[6:7], v[71:72]
	v_add_f64 v[71:72], v[6:7], -v[71:72]
	v_add_f64 v[6:7], v[81:82], -v[89:90]
	v_add_f64 v[81:82], v[83:84], v[91:92]
	v_add_f64 v[83:84], v[83:84], -v[91:92]
	v_fma_f64 v[4:5], v[4:5], -0.5, v[73:74]
	v_fma_f64 v[89:90], v[87:88], s[6:7], v[138:139]
	v_fma_f64 v[91:92], v[85:86], s[2:3], v[140:141]
	;; [unrolled: 1-line block ×3, first 2 shown]
	v_fma_f64 v[81:82], v[81:82], -0.5, v[75:76]
	v_fma_f64 v[75:76], v[83:84], s[6:7], v[4:5]
	v_fma_f64 v[4:5], v[83:84], s[2:3], v[4:5]
	s_delay_alu instid0(VALU_DEP_3) | instskip(SKIP_1) | instid1(VALU_DEP_3)
	v_fma_f64 v[73:74], v[6:7], s[2:3], v[81:82]
	v_fma_f64 v[6:7], v[6:7], s[6:7], v[81:82]
	v_mul_f64 v[81:82], v[4:5], -0.5
	s_delay_alu instid0(VALU_DEP_3) | instskip(NEXT) | instid1(VALU_DEP_1)
	v_mul_f64 v[77:78], v[73:74], s[6:7]
	v_fma_f64 v[77:78], v[75:76], 0.5, v[77:78]
	v_mul_f64 v[75:76], v[75:76], s[2:3]
	s_delay_alu instid0(VALU_DEP_1) | instskip(NEXT) | instid1(VALU_DEP_3)
	v_fma_f64 v[79:80], v[73:74], 0.5, v[75:76]
	v_add_f64 v[73:74], v[89:90], v[77:78]
	v_add_f64 v[77:78], v[89:90], -v[77:78]
	v_fma_f64 v[89:90], v[85:86], s[6:7], v[140:141]
	v_fma_f64 v[85:86], v[6:7], s[6:7], v[81:82]
	v_mul_f64 v[6:7], v[6:7], -0.5
	v_add_f64 v[75:76], v[91:92], v[79:80]
	v_add_f64 v[79:80], v[91:92], -v[79:80]
	s_delay_alu instid0(VALU_DEP_4) | instskip(NEXT) | instid1(VALU_DEP_4)
	v_add_f64 v[81:82], v[87:88], v[85:86]
	v_fma_f64 v[4:5], v[4:5], s[2:3], v[6:7]
	v_add_f64 v[85:86], v[87:88], -v[85:86]
	s_delay_alu instid0(VALU_DEP_2) | instskip(SKIP_3) | instid1(VALU_DEP_2)
	v_add_f64 v[83:84], v[89:90], v[4:5]
	v_add_f64 v[87:88], v[89:90], -v[4:5]
	v_and_b32_e32 v4, 0xffff, v59
	v_lshlrev_b32_e32 v5, 4, v60
	v_mul_u32_u24_e32 v4, 0x3c0, v4
	s_delay_alu instid0(VALU_DEP_1)
	v_add3_u32 v59, 0, v4, v5
	ds_load_b128 v[89:92], v123 offset:3072
	ds_load_b128 v[4:7], v123 offset:4608
	s_waitcnt lgkmcnt(0)
	s_barrier
	buffer_gl0_inv
	ds_store_b128 v59, v[65:68]
	ds_store_b128 v59, v[73:76] offset:160
	ds_store_b128 v59, v[69:72] offset:480
	;; [unrolled: 1-line block ×5, first 2 shown]
	v_add_f64 v[59:60], v[97:98], v[108:109]
	v_add_f64 v[65:66], v[99:100], v[110:111]
	v_add_f64 v[79:80], v[101:102], -v[112:113]
	v_add_f64 v[87:88], v[106:107], -v[114:115]
	v_add_f64 v[83:84], v[99:100], -v[110:111]
	v_add_f64 v[85:86], v[97:98], -v[108:109]
	v_fma_f64 v[59:60], v[59:60], -0.5, v[8:9]
	v_add_f64 v[8:9], v[8:9], v[97:98]
	v_fma_f64 v[77:78], v[65:66], -0.5, v[10:11]
	v_add_f64 v[10:11], v[10:11], v[99:100]
	s_delay_alu instid0(VALU_DEP_3) | instskip(SKIP_1) | instid1(VALU_DEP_3)
	v_add_f64 v[65:66], v[8:9], v[108:109]
	v_add_f64 v[8:9], v[93:94], v[101:102]
	;; [unrolled: 1-line block ×3, first 2 shown]
	v_fma_f64 v[97:98], v[85:86], s[2:3], v[77:78]
	s_delay_alu instid0(VALU_DEP_3) | instskip(SKIP_1) | instid1(VALU_DEP_1)
	v_add_f64 v[69:70], v[8:9], v[112:113]
	v_add_f64 v[8:9], v[95:96], v[106:107]
	v_add_f64 v[71:72], v[8:9], v[114:115]
	s_delay_alu instid0(VALU_DEP_3) | instskip(SKIP_2) | instid1(VALU_DEP_4)
	v_add_f64 v[8:9], v[65:66], v[69:70]
	v_add_f64 v[65:66], v[65:66], -v[69:70]
	v_add_f64 v[69:70], v[101:102], v[112:113]
	v_add_f64 v[10:11], v[67:68], v[71:72]
	v_add_f64 v[67:68], v[67:68], -v[71:72]
	v_add_f64 v[71:72], v[106:107], v[114:115]
	s_delay_alu instid0(VALU_DEP_4) | instskip(NEXT) | instid1(VALU_DEP_2)
	v_fma_f64 v[93:94], v[69:70], -0.5, v[93:94]
	v_fma_f64 v[81:82], v[71:72], -0.5, v[95:96]
	s_delay_alu instid0(VALU_DEP_2)
	v_fma_f64 v[71:72], v[87:88], s[6:7], v[93:94]
	v_fma_f64 v[87:88], v[87:88], s[2:3], v[93:94]
	;; [unrolled: 1-line block ×7, first 2 shown]
	v_mul_f64 v[79:80], v[87:88], -0.5
	s_delay_alu instid0(VALU_DEP_3) | instskip(NEXT) | instid1(VALU_DEP_2)
	v_mul_f64 v[73:74], v[69:70], s[6:7]
	v_fma_f64 v[81:82], v[77:78], s[6:7], v[79:80]
	v_mul_f64 v[77:78], v[77:78], -0.5
	s_delay_alu instid0(VALU_DEP_3) | instskip(SKIP_1) | instid1(VALU_DEP_3)
	v_fma_f64 v[73:74], v[71:72], 0.5, v[73:74]
	v_mul_f64 v[71:72], v[71:72], s[2:3]
	v_fma_f64 v[85:86], v[87:88], s[2:3], v[77:78]
	v_add_f64 v[77:78], v[59:60], v[81:82]
	v_add_f64 v[81:82], v[59:60], -v[81:82]
	v_and_b32_e32 v59, 0xffff, v103
	v_lshlrev_b32_e32 v60, 4, v122
	v_add_f64 v[87:88], v[128:129], -v[136:137]
	s_delay_alu instid0(VALU_DEP_3) | instskip(NEXT) | instid1(VALU_DEP_1)
	v_mul_u32_u24_e32 v59, 0x3c0, v59
	v_add3_u32 v59, 0, v59, v60
	v_fma_f64 v[75:76], v[69:70], 0.5, v[71:72]
	v_add_f64 v[69:70], v[95:96], v[73:74]
	v_add_f64 v[79:80], v[83:84], v[85:86]
	v_add_f64 v[73:74], v[95:96], -v[73:74]
	v_add_f64 v[83:84], v[83:84], -v[85:86]
	v_add_f64 v[85:86], v[120:121], -v[130:131]
	v_add_f64 v[71:72], v[97:98], v[75:76]
	v_add_f64 v[75:76], v[97:98], -v[75:76]
	ds_store_b128 v59, v[8:11]
	ds_store_b128 v59, v[69:72] offset:160
	ds_store_b128 v59, v[77:80] offset:320
	;; [unrolled: 1-line block ×5, first 2 shown]
	v_add_f64 v[8:9], v[120:121], v[130:131]
	v_add_f64 v[65:66], v[116:117], v[126:127]
	;; [unrolled: 1-line block ×3, first 2 shown]
	v_add_f64 v[79:80], v[126:127], -v[134:135]
	v_add_f64 v[83:84], v[124:125], -v[132:133]
	v_fma_f64 v[59:60], v[8:9], -0.5, v[89:90]
	v_add_f64 v[8:9], v[124:125], v[132:133]
	v_add_f64 v[69:70], v[65:66], v[134:135]
	v_add_f64 v[65:66], v[118:119], v[128:129]
	v_add_f64 v[10:11], v[10:11], v[132:133]
	s_delay_alu instid0(VALU_DEP_4) | instskip(SKIP_1) | instid1(VALU_DEP_4)
	v_fma_f64 v[77:78], v[8:9], -0.5, v[91:92]
	v_add_f64 v[8:9], v[89:90], v[120:121]
	v_add_f64 v[71:72], v[65:66], v[136:137]
	v_fma_f64 v[91:92], v[83:84], s[6:7], v[59:60]
	v_fma_f64 v[59:60], v[83:84], s[2:3], v[59:60]
	v_fma_f64 v[93:94], v[85:86], s[2:3], v[77:78]
	v_add_f64 v[8:9], v[8:9], v[130:131]
	v_add_f64 v[67:68], v[10:11], v[71:72]
	v_add_f64 v[10:11], v[10:11], -v[71:72]
	v_add_f64 v[71:72], v[128:129], v[136:137]
	v_fma_f64 v[83:84], v[85:86], s[6:7], v[77:78]
	v_add_f64 v[65:66], v[8:9], v[69:70]
	v_add_f64 v[8:9], v[8:9], -v[69:70]
	v_add_f64 v[69:70], v[126:127], v[134:135]
	v_fma_f64 v[81:82], v[71:72], -0.5, v[118:119]
	s_delay_alu instid0(VALU_DEP_2) | instskip(NEXT) | instid1(VALU_DEP_2)
	v_fma_f64 v[89:90], v[69:70], -0.5, v[116:117]
	v_fma_f64 v[69:70], v[79:80], s[2:3], v[81:82]
	v_fma_f64 v[77:78], v[79:80], s[6:7], v[81:82]
	s_delay_alu instid0(VALU_DEP_3) | instskip(SKIP_1) | instid1(VALU_DEP_4)
	v_fma_f64 v[71:72], v[87:88], s[6:7], v[89:90]
	v_fma_f64 v[87:88], v[87:88], s[2:3], v[89:90]
	v_mul_f64 v[73:74], v[69:70], s[6:7]
	s_delay_alu instid0(VALU_DEP_2) | instskip(NEXT) | instid1(VALU_DEP_2)
	v_mul_f64 v[79:80], v[87:88], -0.5
	v_fma_f64 v[73:74], v[71:72], 0.5, v[73:74]
	v_mul_f64 v[71:72], v[71:72], s[2:3]
	s_delay_alu instid0(VALU_DEP_3) | instskip(SKIP_1) | instid1(VALU_DEP_3)
	v_fma_f64 v[81:82], v[77:78], s[6:7], v[79:80]
	v_mul_f64 v[77:78], v[77:78], -0.5
	v_fma_f64 v[75:76], v[69:70], 0.5, v[71:72]
	v_add_f64 v[69:70], v[91:92], v[73:74]
	v_add_f64 v[73:74], v[91:92], -v[73:74]
	s_delay_alu instid0(VALU_DEP_4) | instskip(NEXT) | instid1(VALU_DEP_4)
	v_fma_f64 v[85:86], v[87:88], s[2:3], v[77:78]
	v_add_f64 v[71:72], v[93:94], v[75:76]
	v_add_f64 v[77:78], v[59:60], v[81:82]
	v_add_f64 v[75:76], v[93:94], -v[75:76]
	v_add_f64 v[81:82], v[59:60], -v[81:82]
	v_mul_u32_u24_e32 v59, 0x3c0, v142
	v_lshlrev_b32_e32 v60, 4, v143
	s_delay_alu instid0(VALU_DEP_1)
	v_add3_u32 v59, 0, v59, v60
	v_add_f64 v[79:80], v[83:84], v[85:86]
	v_add_f64 v[83:84], v[83:84], -v[85:86]
	ds_store_b128 v59, v[65:68]
	ds_store_b128 v59, v[69:72] offset:160
	ds_store_b128 v59, v[77:80] offset:320
	;; [unrolled: 1-line block ×5, first 2 shown]
	v_add_f64 v[8:9], v[36:37], v[44:45]
	s_delay_alu instid0(VALU_DEP_1) | instskip(SKIP_2) | instid1(VALU_DEP_2)
	v_fma_f64 v[59:60], v[8:9], -0.5, v[4:5]
	v_add_f64 v[8:9], v[38:39], v[46:47]
	v_add_f64 v[4:5], v[4:5], v[36:37]
	v_fma_f64 v[65:66], v[8:9], -0.5, v[6:7]
	s_delay_alu instid0(VALU_DEP_2) | instskip(SKIP_3) | instid1(VALU_DEP_3)
	v_add_f64 v[8:9], v[4:5], v[44:45]
	v_add_f64 v[4:5], v[26:27], v[42:43]
	;; [unrolled: 1-line block ×3, first 2 shown]
	v_add_f64 v[44:45], v[36:37], -v[44:45]
	v_add_f64 v[67:68], v[4:5], v[50:51]
	v_add_f64 v[4:5], v[32:33], v[40:41]
	s_delay_alu instid0(VALU_DEP_4) | instskip(SKIP_1) | instid1(VALU_DEP_3)
	v_add_f64 v[10:11], v[6:7], v[46:47]
	v_add_f64 v[46:47], v[38:39], -v[46:47]
	v_add_f64 v[69:70], v[4:5], v[48:49]
	v_add_f64 v[4:5], v[8:9], v[67:68]
	v_add_f64 v[8:9], v[8:9], -v[67:68]
	v_add_f64 v[67:68], v[42:43], v[50:51]
	v_add_f64 v[50:51], v[42:43], -v[50:51]
	;; [unrolled: 2-line block ×4, first 2 shown]
	v_fma_f64 v[69:70], v[44:45], s[2:3], v[65:66]
	v_fma_f64 v[26:27], v[67:68], -0.5, v[26:27]
	v_fma_f64 v[67:68], v[46:47], s[6:7], v[59:60]
	v_fma_f64 v[32:33], v[42:43], -0.5, v[32:33]
	s_delay_alu instid0(VALU_DEP_3) | instskip(SKIP_1) | instid1(VALU_DEP_3)
	v_fma_f64 v[38:39], v[48:49], s[6:7], v[26:27]
	v_fma_f64 v[26:27], v[48:49], s[2:3], v[26:27]
	;; [unrolled: 1-line block ×6, first 2 shown]
	v_mul_f64 v[44:45], v[26:27], -0.5
	v_mul_f64 v[40:41], v[36:37], s[6:7]
	s_delay_alu instid0(VALU_DEP_2) | instskip(NEXT) | instid1(VALU_DEP_2)
	v_fma_f64 v[50:51], v[32:33], s[6:7], v[44:45]
	v_fma_f64 v[40:41], v[38:39], 0.5, v[40:41]
	v_mul_f64 v[38:39], v[38:39], s[2:3]
	v_mul_f64 v[32:33], v[32:33], -0.5
	s_delay_alu instid0(VALU_DEP_4) | instskip(SKIP_1) | instid1(VALU_DEP_4)
	v_add_f64 v[44:45], v[48:49], v[50:51]
	v_add_f64 v[48:49], v[48:49], -v[50:51]
	v_fma_f64 v[42:43], v[36:37], 0.5, v[38:39]
	s_delay_alu instid0(VALU_DEP_4) | instskip(SKIP_2) | instid1(VALU_DEP_4)
	v_fma_f64 v[26:27], v[26:27], s[2:3], v[32:33]
	v_add_f64 v[36:37], v[67:68], v[40:41]
	v_add_f64 v[40:41], v[67:68], -v[40:41]
	v_add_f64 v[38:39], v[69:70], v[42:43]
	s_delay_alu instid0(VALU_DEP_4) | instskip(SKIP_4) | instid1(VALU_DEP_1)
	v_add_f64 v[46:47], v[59:60], v[26:27]
	v_add_f64 v[42:43], v[69:70], -v[42:43]
	v_add_f64 v[50:51], v[59:60], -v[26:27]
	v_mul_u32_u24_e32 v26, 0x3c0, v63
	v_lshlrev_b32_e32 v27, 4, v64
	v_add3_u32 v26, 0, v26, v27
	ds_store_b128 v26, v[4:7]
	ds_store_b128 v26, v[36:39] offset:160
	ds_store_b128 v26, v[44:47] offset:320
	;; [unrolled: 1-line block ×5, first 2 shown]
	v_add_f64 v[4:5], v[16:17], v[24:25]
	s_delay_alu instid0(VALU_DEP_1) | instskip(SKIP_3) | instid1(VALU_DEP_3)
	v_fma_f64 v[26:27], v[4:5], -0.5, v[0:1]
	v_add_f64 v[4:5], v[18:19], v[28:29]
	v_add_f64 v[0:1], v[0:1], v[16:17]
	v_add_f64 v[16:17], v[16:17], -v[24:25]
	v_fma_f64 v[32:33], v[4:5], -0.5, v[2:3]
	s_delay_alu instid0(VALU_DEP_3) | instskip(SKIP_3) | instid1(VALU_DEP_3)
	v_add_f64 v[4:5], v[0:1], v[24:25]
	v_add_f64 v[0:1], v[12:13], v[22:23]
	;; [unrolled: 1-line block ×3, first 2 shown]
	v_add_f64 v[18:19], v[18:19], -v[28:29]
	v_add_f64 v[8:9], v[0:1], v[34:35]
	v_add_f64 v[0:1], v[14:15], v[20:21]
	s_delay_alu instid0(VALU_DEP_4) | instskip(NEXT) | instid1(VALU_DEP_4)
	v_add_f64 v[6:7], v[2:3], v[28:29]
	v_fma_f64 v[28:29], v[18:19], s[6:7], v[26:27]
	s_delay_alu instid0(VALU_DEP_3)
	v_add_f64 v[10:11], v[0:1], v[30:31]
	v_add_f64 v[0:1], v[4:5], v[8:9]
	v_add_f64 v[4:5], v[4:5], -v[8:9]
	v_add_f64 v[8:9], v[22:23], v[34:35]
	v_add_f64 v[22:23], v[22:23], -v[34:35]
	;; [unrolled: 2-line block ×4, first 2 shown]
	v_fma_f64 v[24:25], v[8:9], -0.5, v[12:13]
	v_fma_f64 v[30:31], v[16:17], s[2:3], v[32:33]
	s_delay_alu instid0(VALU_DEP_4) | instskip(NEXT) | instid1(VALU_DEP_3)
	v_fma_f64 v[34:35], v[10:11], -0.5, v[14:15]
	v_fma_f64 v[10:11], v[20:21], s[6:7], v[24:25]
	v_fma_f64 v[20:21], v[20:21], s[2:3], v[24:25]
	;; [unrolled: 1-line block ×6, first 2 shown]
	v_mul_f64 v[18:19], v[20:21], -0.5
	s_delay_alu instid0(VALU_DEP_3) | instskip(NEXT) | instid1(VALU_DEP_2)
	v_mul_f64 v[12:13], v[8:9], s[6:7]
	v_fma_f64 v[22:23], v[16:17], s[6:7], v[18:19]
	v_mul_f64 v[16:17], v[16:17], -0.5
	s_delay_alu instid0(VALU_DEP_3) | instskip(SKIP_1) | instid1(VALU_DEP_1)
	v_fma_f64 v[12:13], v[10:11], 0.5, v[12:13]
	v_mul_f64 v[10:11], v[10:11], s[2:3]
	v_fma_f64 v[14:15], v[8:9], 0.5, v[10:11]
	s_delay_alu instid0(VALU_DEP_3)
	v_add_f64 v[8:9], v[28:29], v[12:13]
	v_add_f64 v[12:13], v[28:29], -v[12:13]
	v_fma_f64 v[28:29], v[20:21], s[2:3], v[16:17]
	v_add_f64 v[16:17], v[24:25], v[22:23]
	v_add_f64 v[20:21], v[24:25], -v[22:23]
	v_mul_u32_u24_e32 v24, 0x3c0, v61
	v_lshlrev_b32_e32 v25, 4, v62
	s_delay_alu instid0(VALU_DEP_1)
	v_add3_u32 v24, 0, v24, v25
	v_add_f64 v[10:11], v[30:31], v[14:15]
	v_add_f64 v[14:15], v[30:31], -v[14:15]
	ds_store_b128 v24, v[0:3]
	ds_store_b128 v24, v[8:11] offset:160
	v_add_f64 v[18:19], v[26:27], v[28:29]
	v_add_f64 v[22:23], v[26:27], -v[28:29]
	v_subrev_nc_u32_e32 v0, 60, v104
	v_mov_b32_e32 v1, v105
	s_delay_alu instid0(VALU_DEP_2) | instskip(NEXT) | instid1(VALU_DEP_1)
	v_cndmask_b32_e64 v59, v0, v104, s0
	v_mul_i32_i24_e32 v0, 5, v59
	s_delay_alu instid0(VALU_DEP_1) | instskip(SKIP_2) | instid1(VALU_DEP_1)
	v_lshlrev_b64 v[0:1], 4, v[0:1]
	ds_store_b128 v24, v[16:19] offset:320
	v_add_co_u32 v16, s0, s4, v0
	v_add_co_ci_u32_e64 v17, s0, s5, v1, s0
	ds_store_b128 v24, v[4:7] offset:480
	ds_store_b128 v24, v[12:15] offset:640
	;; [unrolled: 1-line block ×3, first 2 shown]
	s_waitcnt lgkmcnt(0)
	s_barrier
	buffer_gl0_inv
	s_clause 0x1
	global_load_b128 v[4:7], v[16:17], off offset:800
	global_load_b128 v[8:11], v[16:17], off offset:816
	ds_load_b128 v[12:15], v123 offset:7680
	ds_load_b128 v[0:3], v123 offset:6144
	v_cmp_lt_u32_e64 s0, 59, v104
	s_waitcnt vmcnt(1) lgkmcnt(1)
	v_mul_f64 v[18:19], v[14:15], v[6:7]
	v_mul_f64 v[6:7], v[12:13], v[6:7]
	s_delay_alu instid0(VALU_DEP_2) | instskip(NEXT) | instid1(VALU_DEP_2)
	v_fma_f64 v[68:69], v[12:13], v[4:5], -v[18:19]
	v_fma_f64 v[70:71], v[14:15], v[4:5], v[6:7]
	ds_load_b128 v[4:7], v123 offset:15360
	ds_load_b128 v[12:15], v123 offset:16896
	s_waitcnt vmcnt(0) lgkmcnt(1)
	v_mul_f64 v[18:19], v[6:7], v[10:11]
	s_delay_alu instid0(VALU_DEP_1) | instskip(SKIP_1) | instid1(VALU_DEP_1)
	v_fma_f64 v[72:73], v[4:5], v[8:9], -v[18:19]
	v_mul_f64 v[4:5], v[4:5], v[10:11]
	v_fma_f64 v[74:75], v[6:7], v[8:9], v[4:5]
	s_clause 0x1
	global_load_b128 v[4:7], v[16:17], off offset:832
	global_load_b128 v[8:11], v[16:17], off offset:848
	ds_load_b128 v[18:21], v123 offset:23040
	ds_load_b128 v[22:25], v123 offset:21504
	s_waitcnt vmcnt(1) lgkmcnt(1)
	v_mul_f64 v[26:27], v[20:21], v[6:7]
	v_mul_f64 v[6:7], v[18:19], v[6:7]
	s_delay_alu instid0(VALU_DEP_2) | instskip(NEXT) | instid1(VALU_DEP_2)
	v_fma_f64 v[76:77], v[18:19], v[4:5], -v[26:27]
	v_fma_f64 v[78:79], v[20:21], v[4:5], v[6:7]
	ds_load_b128 v[4:7], v123 offset:30720
	ds_load_b128 v[18:21], v123 offset:32256
	s_waitcnt vmcnt(0) lgkmcnt(1)
	v_mul_f64 v[26:27], v[6:7], v[10:11]
	s_delay_alu instid0(VALU_DEP_1) | instskip(SKIP_1) | instid1(VALU_DEP_1)
	v_fma_f64 v[80:81], v[4:5], v[8:9], -v[26:27]
	v_mul_f64 v[4:5], v[4:5], v[10:11]
	v_fma_f64 v[82:83], v[6:7], v[8:9], v[4:5]
	v_mul_lo_u16 v4, 0x89, v55
	s_delay_alu instid0(VALU_DEP_1) | instskip(NEXT) | instid1(VALU_DEP_1)
	v_lshrrev_b16 v122, 13, v4
	v_mul_lo_u16 v4, v122, 60
	s_delay_alu instid0(VALU_DEP_1) | instskip(NEXT) | instid1(VALU_DEP_1)
	v_sub_nc_u16 v4, v53, v4
	v_and_b32_e32 v134, 0xff, v4
	s_delay_alu instid0(VALU_DEP_1) | instskip(NEXT) | instid1(VALU_DEP_1)
	v_mul_u32_u24_e32 v4, 5, v134
	v_lshlrev_b32_e32 v34, 4, v4
	s_clause 0x1
	global_load_b128 v[4:7], v[16:17], off offset:864
	global_load_b128 v[8:11], v34, s[4:5] offset:800
	ds_load_b128 v[26:29], v123 offset:38400
	ds_load_b128 v[30:33], v123 offset:36864
	s_waitcnt vmcnt(1) lgkmcnt(1)
	v_mul_f64 v[16:17], v[28:29], v[6:7]
	v_mul_f64 v[6:7], v[26:27], v[6:7]
	s_delay_alu instid0(VALU_DEP_2) | instskip(NEXT) | instid1(VALU_DEP_2)
	v_fma_f64 v[84:85], v[26:27], v[4:5], -v[16:17]
	v_fma_f64 v[86:87], v[28:29], v[4:5], v[6:7]
	ds_load_b128 v[4:7], v123 offset:9216
	ds_load_b128 v[26:29], v123 offset:10752
	s_waitcnt vmcnt(0) lgkmcnt(1)
	v_mul_f64 v[16:17], v[6:7], v[10:11]
	s_delay_alu instid0(VALU_DEP_1) | instskip(SKIP_1) | instid1(VALU_DEP_1)
	v_fma_f64 v[88:89], v[4:5], v[8:9], -v[16:17]
	v_mul_f64 v[4:5], v[4:5], v[10:11]
	v_fma_f64 v[90:91], v[6:7], v[8:9], v[4:5]
	s_clause 0x1
	global_load_b128 v[4:7], v34, s[4:5] offset:816
	global_load_b128 v[8:11], v34, s[4:5] offset:832
	s_waitcnt vmcnt(1)
	v_mul_f64 v[16:17], v[14:15], v[6:7]
	v_mul_f64 v[6:7], v[12:13], v[6:7]
	s_delay_alu instid0(VALU_DEP_2) | instskip(NEXT) | instid1(VALU_DEP_2)
	v_fma_f64 v[92:93], v[12:13], v[4:5], -v[16:17]
	v_fma_f64 v[94:95], v[14:15], v[4:5], v[6:7]
	ds_load_b128 v[4:7], v123 offset:24576
	ds_load_b128 v[12:15], v123 offset:26112
	s_waitcnt vmcnt(0) lgkmcnt(1)
	v_mul_f64 v[16:17], v[6:7], v[10:11]
	s_delay_alu instid0(VALU_DEP_1) | instskip(SKIP_1) | instid1(VALU_DEP_1)
	v_fma_f64 v[96:97], v[4:5], v[8:9], -v[16:17]
	v_mul_f64 v[4:5], v[4:5], v[10:11]
	v_fma_f64 v[98:99], v[6:7], v[8:9], v[4:5]
	s_clause 0x1
	global_load_b128 v[4:7], v34, s[4:5] offset:848
	global_load_b128 v[8:11], v34, s[4:5] offset:864
	s_waitcnt vmcnt(1)
	v_mul_f64 v[16:17], v[20:21], v[6:7]
	v_mul_f64 v[6:7], v[18:19], v[6:7]
	s_delay_alu instid0(VALU_DEP_2) | instskip(NEXT) | instid1(VALU_DEP_2)
	v_fma_f64 v[100:101], v[18:19], v[4:5], -v[16:17]
	v_fma_f64 v[102:103], v[20:21], v[4:5], v[6:7]
	ds_load_b128 v[4:7], v123 offset:39936
	ds_load_b128 v[16:19], v123 offset:41472
	s_waitcnt vmcnt(0) lgkmcnt(1)
	v_mul_f64 v[20:21], v[6:7], v[10:11]
	s_delay_alu instid0(VALU_DEP_1) | instskip(SKIP_1) | instid1(VALU_DEP_1)
	v_fma_f64 v[106:107], v[4:5], v[8:9], -v[20:21]
	v_mul_f64 v[4:5], v[4:5], v[10:11]
	v_fma_f64 v[108:109], v[6:7], v[8:9], v[4:5]
	v_mul_u32_u24_e32 v4, 0x8889, v56
	s_delay_alu instid0(VALU_DEP_1) | instskip(NEXT) | instid1(VALU_DEP_1)
	v_lshrrev_b32_e32 v135, 21, v4
	v_mul_lo_u16 v4, v135, 60
	s_delay_alu instid0(VALU_DEP_1) | instskip(NEXT) | instid1(VALU_DEP_1)
	v_sub_nc_u16 v4, v54, v4
	v_and_b32_e32 v136, 0xffff, v4
	s_delay_alu instid0(VALU_DEP_1) | instskip(NEXT) | instid1(VALU_DEP_1)
	v_mul_u32_u24_e32 v4, 5, v136
	v_lshlrev_b32_e32 v34, 4, v4
	s_clause 0x1
	global_load_b128 v[4:7], v34, s[4:5] offset:800
	global_load_b128 v[8:11], v34, s[4:5] offset:816
	s_waitcnt vmcnt(1)
	v_mul_f64 v[20:21], v[28:29], v[6:7]
	v_mul_f64 v[6:7], v[26:27], v[6:7]
	s_delay_alu instid0(VALU_DEP_2) | instskip(NEXT) | instid1(VALU_DEP_2)
	v_fma_f64 v[110:111], v[26:27], v[4:5], -v[20:21]
	v_fma_f64 v[112:113], v[28:29], v[4:5], v[6:7]
	ds_load_b128 v[4:7], v123 offset:18432
	ds_load_b128 v[38:41], v123 offset:19968
	s_waitcnt vmcnt(0) lgkmcnt(1)
	v_mul_f64 v[20:21], v[6:7], v[10:11]
	s_delay_alu instid0(VALU_DEP_1) | instskip(SKIP_1) | instid1(VALU_DEP_1)
	v_fma_f64 v[114:115], v[4:5], v[8:9], -v[20:21]
	v_mul_f64 v[4:5], v[4:5], v[10:11]
	v_fma_f64 v[116:117], v[6:7], v[8:9], v[4:5]
	s_clause 0x1
	global_load_b128 v[4:7], v34, s[4:5] offset:832
	global_load_b128 v[8:11], v34, s[4:5] offset:848
	s_waitcnt vmcnt(1)
	v_mul_f64 v[20:21], v[14:15], v[6:7]
	v_mul_f64 v[6:7], v[12:13], v[6:7]
	s_delay_alu instid0(VALU_DEP_2) | instskip(NEXT) | instid1(VALU_DEP_2)
	v_fma_f64 v[118:119], v[12:13], v[4:5], -v[20:21]
	v_fma_f64 v[120:121], v[14:15], v[4:5], v[6:7]
	ds_load_b128 v[4:7], v123 offset:33792
	ds_load_b128 v[12:15], v123 offset:35328
	s_waitcnt vmcnt(0) lgkmcnt(1)
	v_mul_f64 v[20:21], v[6:7], v[10:11]
	s_delay_alu instid0(VALU_DEP_1) | instskip(SKIP_1) | instid1(VALU_DEP_1)
	v_fma_f64 v[124:125], v[4:5], v[8:9], -v[20:21]
	v_mul_f64 v[4:5], v[4:5], v[10:11]
	v_fma_f64 v[126:127], v[6:7], v[8:9], v[4:5]
	v_mul_u32_u24_e32 v4, 0x8889, v57
	s_delay_alu instid0(VALU_DEP_1) | instskip(NEXT) | instid1(VALU_DEP_1)
	v_lshrrev_b32_e32 v55, 21, v4
	v_mul_lo_u16 v4, v55, 60
	s_delay_alu instid0(VALU_DEP_1) | instskip(NEXT) | instid1(VALU_DEP_1)
	v_sub_nc_u16 v4, v52, v4
	v_and_b32_e32 v56, 0xffff, v4
	s_delay_alu instid0(VALU_DEP_1) | instskip(NEXT) | instid1(VALU_DEP_1)
	v_mul_u32_u24_e32 v4, 5, v56
	v_lshlrev_b32_e32 v26, 4, v4
	s_clause 0x1
	global_load_b128 v[4:7], v34, s[4:5] offset:864
	global_load_b128 v[8:11], v26, s[4:5] offset:800
	s_waitcnt vmcnt(1)
	v_mul_f64 v[20:21], v[18:19], v[6:7]
	v_mul_f64 v[6:7], v[16:17], v[6:7]
	s_delay_alu instid0(VALU_DEP_2) | instskip(NEXT) | instid1(VALU_DEP_2)
	v_fma_f64 v[128:129], v[16:17], v[4:5], -v[20:21]
	v_fma_f64 v[130:131], v[18:19], v[4:5], v[6:7]
	ds_load_b128 v[4:7], v123 offset:12288
	ds_load_b128 v[16:19], v123 offset:13824
	s_waitcnt vmcnt(0) lgkmcnt(1)
	v_mul_f64 v[20:21], v[6:7], v[10:11]
	s_delay_alu instid0(VALU_DEP_1) | instskip(SKIP_1) | instid1(VALU_DEP_1)
	v_fma_f64 v[28:29], v[4:5], v[8:9], -v[20:21]
	v_mul_f64 v[4:5], v[4:5], v[10:11]
	v_fma_f64 v[34:35], v[6:7], v[8:9], v[4:5]
	s_clause 0x1
	global_load_b128 v[4:7], v26, s[4:5] offset:816
	global_load_b128 v[8:11], v26, s[4:5] offset:832
	s_waitcnt vmcnt(1)
	v_mul_f64 v[20:21], v[40:41], v[6:7]
	v_mul_f64 v[6:7], v[38:39], v[6:7]
	s_delay_alu instid0(VALU_DEP_2) | instskip(NEXT) | instid1(VALU_DEP_2)
	v_fma_f64 v[36:37], v[38:39], v[4:5], -v[20:21]
	v_fma_f64 v[38:39], v[40:41], v[4:5], v[6:7]
	ds_load_b128 v[4:7], v123 offset:27648
	ds_load_b128 v[60:63], v123 offset:29184
	s_waitcnt vmcnt(0) lgkmcnt(1)
	v_mul_f64 v[20:21], v[6:7], v[10:11]
	s_delay_alu instid0(VALU_DEP_1) | instskip(SKIP_1) | instid1(VALU_DEP_1)
	v_fma_f64 v[42:43], v[4:5], v[8:9], -v[20:21]
	v_mul_f64 v[4:5], v[4:5], v[10:11]
	v_fma_f64 v[40:41], v[6:7], v[8:9], v[4:5]
	;; [unrolled: 17-line block ×3, first 2 shown]
	v_mul_u32_u24_e32 v4, 0x8889, v58
	s_delay_alu instid0(VALU_DEP_1) | instskip(NEXT) | instid1(VALU_DEP_1)
	v_lshrrev_b32_e32 v53, 21, v4
	v_mul_lo_u16 v4, v53, 60
	s_delay_alu instid0(VALU_DEP_1) | instskip(NEXT) | instid1(VALU_DEP_1)
	v_sub_nc_u16 v4, v144, v4
	v_and_b32_e32 v54, 0xffff, v4
	s_delay_alu instid0(VALU_DEP_1) | instskip(NEXT) | instid1(VALU_DEP_1)
	v_mul_u32_u24_e32 v4, 5, v54
	v_lshlrev_b32_e32 v57, 4, v4
	s_clause 0x1
	global_load_b128 v[4:7], v57, s[4:5] offset:800
	global_load_b128 v[8:11], v57, s[4:5] offset:816
	s_waitcnt vmcnt(1)
	v_mul_f64 v[12:13], v[18:19], v[6:7]
	v_mul_f64 v[6:7], v[16:17], v[6:7]
	s_delay_alu instid0(VALU_DEP_2) | instskip(NEXT) | instid1(VALU_DEP_2)
	v_fma_f64 v[12:13], v[16:17], v[4:5], -v[12:13]
	v_fma_f64 v[14:15], v[18:19], v[4:5], v[6:7]
	s_waitcnt vmcnt(0)
	v_mul_f64 v[4:5], v[24:25], v[10:11]
	s_delay_alu instid0(VALU_DEP_1) | instskip(SKIP_1) | instid1(VALU_DEP_1)
	v_fma_f64 v[16:17], v[22:23], v[8:9], -v[4:5]
	v_mul_f64 v[4:5], v[22:23], v[10:11]
	v_fma_f64 v[18:19], v[24:25], v[8:9], v[4:5]
	s_clause 0x1
	global_load_b128 v[4:7], v57, s[4:5] offset:832
	global_load_b128 v[8:11], v57, s[4:5] offset:848
	s_waitcnt vmcnt(1)
	v_mul_f64 v[20:21], v[62:63], v[6:7]
	v_mul_f64 v[6:7], v[60:61], v[6:7]
	s_delay_alu instid0(VALU_DEP_2) | instskip(NEXT) | instid1(VALU_DEP_2)
	v_fma_f64 v[22:23], v[60:61], v[4:5], -v[20:21]
	v_fma_f64 v[20:21], v[62:63], v[4:5], v[6:7]
	s_waitcnt vmcnt(0)
	v_mul_f64 v[4:5], v[32:33], v[10:11]
	v_add_f64 v[60:61], v[74:75], v[82:83]
	s_delay_alu instid0(VALU_DEP_2) | instskip(SKIP_1) | instid1(VALU_DEP_1)
	v_fma_f64 v[24:25], v[30:31], v[8:9], -v[4:5]
	v_mul_f64 v[4:5], v[30:31], v[10:11]
	v_fma_f64 v[26:27], v[32:33], v[8:9], v[4:5]
	global_load_b128 v[4:7], v57, s[4:5] offset:864
	v_add_f64 v[57:58], v[72:73], v[80:81]
	s_waitcnt vmcnt(0) lgkmcnt(0)
	v_mul_f64 v[8:9], v[66:67], v[6:7]
	v_mul_f64 v[6:7], v[64:65], v[6:7]
	s_delay_alu instid0(VALU_DEP_2) | instskip(NEXT) | instid1(VALU_DEP_2)
	v_fma_f64 v[32:33], v[64:65], v[4:5], -v[8:9]
	v_fma_f64 v[30:31], v[66:67], v[4:5], v[6:7]
	ds_load_b128 v[4:7], v123
	ds_load_b128 v[8:11], v123 offset:1536
	s_waitcnt lgkmcnt(1)
	v_fma_f64 v[132:133], v[60:61], -0.5, v[6:7]
	v_add_f64 v[60:61], v[68:69], v[76:77]
	v_fma_f64 v[57:58], v[57:58], -0.5, v[4:5]
	v_add_f64 v[4:5], v[4:5], v[72:73]
	v_add_f64 v[6:7], v[6:7], v[74:75]
	s_delay_alu instid0(VALU_DEP_4) | instskip(SKIP_1) | instid1(VALU_DEP_4)
	v_add_f64 v[64:65], v[60:61], v[84:85]
	v_add_f64 v[60:61], v[70:71], v[78:79]
	;; [unrolled: 1-line block ×3, first 2 shown]
	s_delay_alu instid0(VALU_DEP_4)
	v_add_f64 v[6:7], v[6:7], v[82:83]
	v_add_f64 v[80:81], v[72:73], -v[80:81]
	v_add_f64 v[82:83], v[74:75], -v[82:83]
	v_add_f64 v[66:67], v[60:61], v[86:87]
	v_add_f64 v[60:61], v[4:5], v[64:65]
	v_add_f64 v[64:65], v[4:5], -v[64:65]
	v_add_f64 v[4:5], v[76:77], v[84:85]
	s_delay_alu instid0(VALU_DEP_4)
	v_add_f64 v[62:63], v[6:7], v[66:67]
	v_add_f64 v[66:67], v[6:7], -v[66:67]
	v_add_f64 v[6:7], v[76:77], -v[84:85]
	v_add_f64 v[76:77], v[78:79], v[86:87]
	v_add_f64 v[78:79], v[78:79], -v[86:87]
	v_fma_f64 v[4:5], v[4:5], -0.5, v[68:69]
	v_fma_f64 v[84:85], v[82:83], s[6:7], v[57:58]
	v_fma_f64 v[86:87], v[80:81], s[2:3], v[132:133]
	;; [unrolled: 1-line block ×4, first 2 shown]
	v_fma_f64 v[76:77], v[76:77], -0.5, v[70:71]
	v_fma_f64 v[70:71], v[78:79], s[6:7], v[4:5]
	v_fma_f64 v[4:5], v[78:79], s[2:3], v[4:5]
	s_delay_alu instid0(VALU_DEP_3) | instskip(SKIP_1) | instid1(VALU_DEP_3)
	v_fma_f64 v[68:69], v[6:7], s[2:3], v[76:77]
	v_fma_f64 v[6:7], v[6:7], s[6:7], v[76:77]
	v_mul_f64 v[76:77], v[4:5], -0.5
	s_delay_alu instid0(VALU_DEP_3) | instskip(NEXT) | instid1(VALU_DEP_2)
	v_mul_f64 v[72:73], v[68:69], s[6:7]
	v_fma_f64 v[80:81], v[6:7], s[6:7], v[76:77]
	v_mul_f64 v[6:7], v[6:7], -0.5
	s_delay_alu instid0(VALU_DEP_3) | instskip(SKIP_1) | instid1(VALU_DEP_4)
	v_fma_f64 v[72:73], v[70:71], 0.5, v[72:73]
	v_mul_f64 v[70:71], v[70:71], s[2:3]
	v_add_f64 v[76:77], v[57:58], v[80:81]
	s_delay_alu instid0(VALU_DEP_4) | instskip(SKIP_1) | instid1(VALU_DEP_4)
	v_fma_f64 v[4:5], v[4:5], s[2:3], v[6:7]
	v_add_f64 v[80:81], v[57:58], -v[80:81]
	v_fma_f64 v[74:75], v[68:69], 0.5, v[70:71]
	v_add_f64 v[68:69], v[84:85], v[72:73]
	v_add_f64 v[72:73], v[84:85], -v[72:73]
	v_add_f64 v[78:79], v[82:83], v[4:5]
	v_add_f64 v[82:83], v[82:83], -v[4:5]
	v_lshlrev_b32_e32 v4, 4, v59
	v_cndmask_b32_e64 v5, 0, 0x1680, s0
	s_delay_alu instid0(VALU_DEP_1)
	v_add3_u32 v57, 0, v5, v4
	v_add_f64 v[70:71], v[86:87], v[74:75]
	v_add_f64 v[74:75], v[86:87], -v[74:75]
	ds_load_b128 v[84:87], v123 offset:3072
	ds_load_b128 v[4:7], v123 offset:4608
	s_waitcnt lgkmcnt(0)
	s_barrier
	buffer_gl0_inv
	ds_store_b128 v57, v[60:63]
	ds_store_b128 v57, v[68:71] offset:960
	ds_store_b128 v57, v[64:67] offset:2880
	ds_store_b128 v57, v[76:79] offset:1920
	ds_store_b128 v57, v[72:75] offset:3840
	ds_store_b128 v57, v[80:83] offset:4800
	v_add_f64 v[57:58], v[92:93], v[100:101]
	v_add_f64 v[73:74], v[96:97], -v[106:107]
	v_add_f64 v[81:82], v[98:99], -v[108:109]
	;; [unrolled: 1-line block ×4, first 2 shown]
	v_fma_f64 v[69:70], v[57:58], -0.5, v[8:9]
	v_add_f64 v[57:58], v[94:95], v[102:103]
	v_add_f64 v[8:9], v[8:9], v[92:93]
	s_delay_alu instid0(VALU_DEP_2) | instskip(NEXT) | instid1(VALU_DEP_2)
	v_fma_f64 v[71:72], v[57:58], -0.5, v[10:11]
	v_add_f64 v[57:58], v[8:9], v[100:101]
	v_add_f64 v[8:9], v[88:89], v[96:97]
	;; [unrolled: 1-line block ×3, first 2 shown]
	s_delay_alu instid0(VALU_DEP_4) | instskip(SKIP_1) | instid1(VALU_DEP_4)
	v_fma_f64 v[92:93], v[79:80], s[2:3], v[71:72]
	v_fma_f64 v[79:80], v[79:80], s[6:7], v[71:72]
	v_add_f64 v[61:62], v[8:9], v[106:107]
	v_add_f64 v[8:9], v[90:91], v[98:99]
	;; [unrolled: 1-line block ×3, first 2 shown]
	s_delay_alu instid0(VALU_DEP_2) | instskip(NEXT) | instid1(VALU_DEP_4)
	v_add_f64 v[63:64], v[8:9], v[108:109]
	v_add_f64 v[8:9], v[57:58], v[61:62]
	v_add_f64 v[57:58], v[57:58], -v[61:62]
	v_add_f64 v[61:62], v[96:97], v[106:107]
	v_mov_b32_e32 v97, v105
	v_add_f64 v[10:11], v[59:60], v[63:64]
	v_add_f64 v[59:60], v[59:60], -v[63:64]
	v_add_f64 v[63:64], v[98:99], v[108:109]
	v_fma_f64 v[88:89], v[61:62], -0.5, v[88:89]
	s_delay_alu instid0(VALU_DEP_2) | instskip(NEXT) | instid1(VALU_DEP_2)
	v_fma_f64 v[75:76], v[63:64], -0.5, v[90:91]
	v_fma_f64 v[63:64], v[81:82], s[6:7], v[88:89]
	v_fma_f64 v[81:82], v[81:82], s[2:3], v[88:89]
	;; [unrolled: 1-line block ×6, first 2 shown]
	v_mul_f64 v[71:72], v[81:82], -0.5
	s_delay_alu instid0(VALU_DEP_3) | instskip(NEXT) | instid1(VALU_DEP_2)
	v_mul_f64 v[65:66], v[61:62], s[6:7]
	v_fma_f64 v[73:74], v[69:70], s[6:7], v[71:72]
	v_mul_f64 v[69:70], v[69:70], -0.5
	s_delay_alu instid0(VALU_DEP_3) | instskip(SKIP_1) | instid1(VALU_DEP_3)
	v_fma_f64 v[65:66], v[63:64], 0.5, v[65:66]
	v_mul_f64 v[63:64], v[63:64], s[2:3]
	v_fma_f64 v[75:76], v[81:82], s[2:3], v[69:70]
	v_add_f64 v[69:70], v[77:78], v[73:74]
	v_add_f64 v[73:74], v[77:78], -v[73:74]
	v_and_b32_e32 v77, 0xffff, v122
	v_lshlrev_b32_e32 v78, 4, v134
	v_add_f64 v[81:82], v[120:121], -v[130:131]
	s_delay_alu instid0(VALU_DEP_3) | instskip(NEXT) | instid1(VALU_DEP_1)
	v_mul_u32_u24_e32 v77, 0x1680, v77
	v_add3_u32 v77, 0, v77, v78
	v_fma_f64 v[67:68], v[61:62], 0.5, v[63:64]
	v_add_f64 v[61:62], v[90:91], v[65:66]
	v_add_f64 v[71:72], v[79:80], v[75:76]
	v_add_f64 v[65:66], v[90:91], -v[65:66]
	v_add_f64 v[75:76], v[79:80], -v[75:76]
	;; [unrolled: 1-line block ×3, first 2 shown]
	v_add_f64 v[63:64], v[92:93], v[67:68]
	v_add_f64 v[67:68], v[92:93], -v[67:68]
	ds_store_b128 v77, v[8:11]
	ds_store_b128 v77, v[61:64] offset:960
	ds_store_b128 v77, v[69:72] offset:1920
	;; [unrolled: 1-line block ×5, first 2 shown]
	v_add_f64 v[8:9], v[114:115], v[124:125]
	v_add_f64 v[57:58], v[110:111], v[118:119]
	;; [unrolled: 1-line block ×3, first 2 shown]
	v_add_f64 v[73:74], v[118:119], -v[128:129]
	v_add_f64 v[77:78], v[116:117], -v[126:127]
	v_fma_f64 v[69:70], v[8:9], -0.5, v[84:85]
	v_add_f64 v[8:9], v[116:117], v[126:127]
	v_add_f64 v[61:62], v[57:58], v[128:129]
	;; [unrolled: 1-line block ×4, first 2 shown]
	s_delay_alu instid0(VALU_DEP_4) | instskip(SKIP_1) | instid1(VALU_DEP_4)
	v_fma_f64 v[71:72], v[8:9], -0.5, v[86:87]
	v_add_f64 v[8:9], v[84:85], v[114:115]
	v_add_f64 v[63:64], v[57:58], v[130:131]
	v_fma_f64 v[85:86], v[77:78], s[6:7], v[69:70]
	v_fma_f64 v[77:78], v[77:78], s[2:3], v[69:70]
	;; [unrolled: 1-line block ×3, first 2 shown]
	v_add_f64 v[8:9], v[8:9], v[124:125]
	v_add_f64 v[59:60], v[10:11], v[63:64]
	v_add_f64 v[10:11], v[10:11], -v[63:64]
	v_add_f64 v[63:64], v[120:121], v[130:131]
	v_fma_f64 v[79:80], v[79:80], s[6:7], v[71:72]
	v_add_f64 v[57:58], v[8:9], v[61:62]
	v_add_f64 v[8:9], v[8:9], -v[61:62]
	v_add_f64 v[61:62], v[118:119], v[128:129]
	v_fma_f64 v[75:76], v[63:64], -0.5, v[112:113]
	s_delay_alu instid0(VALU_DEP_2) | instskip(NEXT) | instid1(VALU_DEP_2)
	v_fma_f64 v[83:84], v[61:62], -0.5, v[110:111]
	v_fma_f64 v[61:62], v[73:74], s[2:3], v[75:76]
	v_fma_f64 v[69:70], v[73:74], s[6:7], v[75:76]
	s_delay_alu instid0(VALU_DEP_3) | instskip(SKIP_1) | instid1(VALU_DEP_4)
	v_fma_f64 v[63:64], v[81:82], s[6:7], v[83:84]
	v_fma_f64 v[81:82], v[81:82], s[2:3], v[83:84]
	v_mul_f64 v[65:66], v[61:62], s[6:7]
	s_delay_alu instid0(VALU_DEP_2) | instskip(NEXT) | instid1(VALU_DEP_2)
	v_mul_f64 v[71:72], v[81:82], -0.5
	v_fma_f64 v[65:66], v[63:64], 0.5, v[65:66]
	v_mul_f64 v[63:64], v[63:64], s[2:3]
	s_delay_alu instid0(VALU_DEP_3) | instskip(SKIP_1) | instid1(VALU_DEP_3)
	v_fma_f64 v[73:74], v[69:70], s[6:7], v[71:72]
	v_mul_f64 v[69:70], v[69:70], -0.5
	v_fma_f64 v[67:68], v[61:62], 0.5, v[63:64]
	v_add_f64 v[61:62], v[85:86], v[65:66]
	v_add_f64 v[65:66], v[85:86], -v[65:66]
	s_delay_alu instid0(VALU_DEP_4) | instskip(NEXT) | instid1(VALU_DEP_4)
	v_fma_f64 v[75:76], v[81:82], s[2:3], v[69:70]
	v_add_f64 v[63:64], v[87:88], v[67:68]
	v_add_f64 v[69:70], v[77:78], v[73:74]
	v_add_f64 v[67:68], v[87:88], -v[67:68]
	v_add_f64 v[73:74], v[77:78], -v[73:74]
	v_mul_u32_u24_e32 v77, 0x1680, v135
	v_lshlrev_b32_e32 v78, 4, v136
	s_delay_alu instid0(VALU_DEP_1)
	v_add3_u32 v77, 0, v77, v78
	v_add_f64 v[71:72], v[79:80], v[75:76]
	v_add_f64 v[75:76], v[79:80], -v[75:76]
	ds_store_b128 v77, v[57:60]
	ds_store_b128 v77, v[61:64] offset:960
	ds_store_b128 v77, v[69:72] offset:1920
	;; [unrolled: 1-line block ×5, first 2 shown]
	v_add_f64 v[8:9], v[36:37], v[44:45]
	s_delay_alu instid0(VALU_DEP_1) | instskip(SKIP_2) | instid1(VALU_DEP_2)
	v_fma_f64 v[57:58], v[8:9], -0.5, v[4:5]
	v_add_f64 v[8:9], v[38:39], v[46:47]
	v_add_f64 v[4:5], v[4:5], v[36:37]
	v_fma_f64 v[59:60], v[8:9], -0.5, v[6:7]
	s_delay_alu instid0(VALU_DEP_2) | instskip(SKIP_3) | instid1(VALU_DEP_3)
	v_add_f64 v[8:9], v[4:5], v[44:45]
	v_add_f64 v[4:5], v[28:29], v[42:43]
	;; [unrolled: 1-line block ×3, first 2 shown]
	v_add_f64 v[44:45], v[36:37], -v[44:45]
	v_add_f64 v[61:62], v[4:5], v[50:51]
	v_add_f64 v[4:5], v[34:35], v[40:41]
	s_delay_alu instid0(VALU_DEP_4) | instskip(SKIP_1) | instid1(VALU_DEP_3)
	v_add_f64 v[10:11], v[6:7], v[46:47]
	v_add_f64 v[46:47], v[38:39], -v[46:47]
	v_add_f64 v[63:64], v[4:5], v[48:49]
	v_add_f64 v[4:5], v[8:9], v[61:62]
	v_add_f64 v[8:9], v[8:9], -v[61:62]
	v_add_f64 v[61:62], v[42:43], v[50:51]
	v_add_f64 v[42:43], v[42:43], -v[50:51]
	;; [unrolled: 2-line block ×4, first 2 shown]
	v_fma_f64 v[63:64], v[44:45], s[2:3], v[59:60]
	v_fma_f64 v[28:29], v[61:62], -0.5, v[28:29]
	v_fma_f64 v[61:62], v[46:47], s[6:7], v[57:58]
	v_fma_f64 v[50:51], v[50:51], -0.5, v[34:35]
	v_fma_f64 v[46:47], v[46:47], s[2:3], v[57:58]
	v_add_nc_u32_e32 v58, 0x2a0, v104
	v_fma_f64 v[36:37], v[48:49], s[6:7], v[28:29]
	v_fma_f64 v[28:29], v[48:49], s[2:3], v[28:29]
	v_fma_f64 v[34:35], v[42:43], s[2:3], v[50:51]
	v_fma_f64 v[48:49], v[44:45], s[6:7], v[59:60]
	v_fma_f64 v[42:43], v[42:43], s[6:7], v[50:51]
	s_delay_alu instid0(VALU_DEP_4) | instskip(NEXT) | instid1(VALU_DEP_4)
	v_mul_f64 v[44:45], v[28:29], -0.5
	v_mul_f64 v[38:39], v[34:35], s[6:7]
	s_delay_alu instid0(VALU_DEP_2) | instskip(NEXT) | instid1(VALU_DEP_2)
	v_fma_f64 v[50:51], v[42:43], s[6:7], v[44:45]
	v_fma_f64 v[38:39], v[36:37], 0.5, v[38:39]
	v_mul_f64 v[36:37], v[36:37], s[2:3]
	v_mul_f64 v[42:43], v[42:43], -0.5
	s_delay_alu instid0(VALU_DEP_2) | instskip(NEXT) | instid1(VALU_DEP_2)
	v_fma_f64 v[40:41], v[34:35], 0.5, v[36:37]
	v_fma_f64 v[28:29], v[28:29], s[2:3], v[42:43]
	v_add_f64 v[34:35], v[61:62], v[38:39]
	v_add_f64 v[42:43], v[46:47], v[50:51]
	v_add_f64 v[38:39], v[61:62], -v[38:39]
	v_add_f64 v[46:47], v[46:47], -v[50:51]
	v_add_f64 v[36:37], v[63:64], v[40:41]
	v_add_f64 v[44:45], v[48:49], v[28:29]
	v_add_f64 v[40:41], v[63:64], -v[40:41]
	v_add_f64 v[48:49], v[48:49], -v[28:29]
	v_mul_u32_u24_e32 v28, 0x1680, v55
	v_lshlrev_b32_e32 v29, 4, v56
	s_delay_alu instid0(VALU_DEP_1)
	v_add3_u32 v28, 0, v28, v29
	ds_store_b128 v28, v[4:7]
	ds_store_b128 v28, v[34:37] offset:960
	ds_store_b128 v28, v[42:45] offset:1920
	;; [unrolled: 1-line block ×5, first 2 shown]
	v_add_f64 v[4:5], v[16:17], v[24:25]
	s_delay_alu instid0(VALU_DEP_1) | instskip(SKIP_3) | instid1(VALU_DEP_3)
	v_fma_f64 v[28:29], v[4:5], -0.5, v[0:1]
	v_add_f64 v[4:5], v[18:19], v[26:27]
	v_add_f64 v[0:1], v[0:1], v[16:17]
	v_add_f64 v[16:17], v[16:17], -v[24:25]
	v_fma_f64 v[34:35], v[4:5], -0.5, v[2:3]
	s_delay_alu instid0(VALU_DEP_3) | instskip(SKIP_3) | instid1(VALU_DEP_3)
	v_add_f64 v[4:5], v[0:1], v[24:25]
	v_add_f64 v[0:1], v[12:13], v[22:23]
	;; [unrolled: 1-line block ×3, first 2 shown]
	v_add_f64 v[18:19], v[18:19], -v[26:27]
	v_add_f64 v[8:9], v[0:1], v[32:33]
	v_add_f64 v[0:1], v[14:15], v[20:21]
	s_delay_alu instid0(VALU_DEP_4) | instskip(NEXT) | instid1(VALU_DEP_4)
	v_add_f64 v[6:7], v[2:3], v[26:27]
	v_fma_f64 v[26:27], v[18:19], s[6:7], v[28:29]
	s_delay_alu instid0(VALU_DEP_3)
	v_add_f64 v[10:11], v[0:1], v[30:31]
	v_add_f64 v[0:1], v[4:5], v[8:9]
	v_add_f64 v[4:5], v[4:5], -v[8:9]
	v_add_f64 v[8:9], v[22:23], v[32:33]
	v_add_f64 v[22:23], v[22:23], -v[32:33]
	;; [unrolled: 2-line block ×4, first 2 shown]
	v_fma_f64 v[24:25], v[8:9], -0.5, v[12:13]
	v_fma_f64 v[30:31], v[16:17], s[2:3], v[34:35]
	s_delay_alu instid0(VALU_DEP_4) | instskip(NEXT) | instid1(VALU_DEP_3)
	v_fma_f64 v[32:33], v[10:11], -0.5, v[14:15]
	v_fma_f64 v[10:11], v[20:21], s[6:7], v[24:25]
	v_fma_f64 v[20:21], v[20:21], s[2:3], v[24:25]
	;; [unrolled: 1-line block ×3, first 2 shown]
	s_delay_alu instid0(VALU_DEP_4) | instskip(NEXT) | instid1(VALU_DEP_3)
	v_fma_f64 v[8:9], v[22:23], s[2:3], v[32:33]
	v_mul_f64 v[18:19], v[20:21], -0.5
	s_delay_alu instid0(VALU_DEP_2) | instskip(NEXT) | instid1(VALU_DEP_1)
	v_mul_f64 v[12:13], v[8:9], s[6:7]
	v_fma_f64 v[12:13], v[10:11], 0.5, v[12:13]
	v_mul_f64 v[10:11], v[10:11], s[2:3]
	s_delay_alu instid0(VALU_DEP_1) | instskip(NEXT) | instid1(VALU_DEP_3)
	v_fma_f64 v[14:15], v[8:9], 0.5, v[10:11]
	v_add_f64 v[8:9], v[26:27], v[12:13]
	v_add_f64 v[12:13], v[26:27], -v[12:13]
	v_fma_f64 v[26:27], v[16:17], s[6:7], v[34:35]
	v_fma_f64 v[16:17], v[22:23], s[6:7], v[32:33]
	v_add_f64 v[10:11], v[30:31], v[14:15]
	v_add_f64 v[14:15], v[30:31], -v[14:15]
	s_delay_alu instid0(VALU_DEP_3) | instskip(SKIP_1) | instid1(VALU_DEP_1)
	v_fma_f64 v[22:23], v[16:17], s[6:7], v[18:19]
	v_mul_f64 v[16:17], v[16:17], -0.5
	v_fma_f64 v[28:29], v[20:21], s[2:3], v[16:17]
	s_delay_alu instid0(VALU_DEP_3) | instskip(SKIP_3) | instid1(VALU_DEP_1)
	v_add_f64 v[16:17], v[24:25], v[22:23]
	v_add_f64 v[20:21], v[24:25], -v[22:23]
	v_mul_u32_u24_e32 v24, 0x1680, v53
	v_lshlrev_b32_e32 v25, 4, v54
	v_add3_u32 v24, 0, v24, v25
	ds_store_b128 v24, v[0:3]
	v_add_f64 v[18:19], v[26:27], v[28:29]
	v_add_f64 v[22:23], v[26:27], -v[28:29]
	scratch_load_b64 v[25:26], off, off offset:32 ; 8-byte Folded Reload
	ds_store_b128 v24, v[8:11] offset:960
	ds_store_b128 v24, v[16:19] offset:1920
	;; [unrolled: 1-line block ×5, first 2 shown]
	s_waitcnt vmcnt(0) lgkmcnt(0)
	s_barrier
	buffer_gl0_inv
	ds_load_b128 v[12:15], v123 offset:23040
	v_add_co_u32 v101, s0, s4, v25
	s_delay_alu instid0(VALU_DEP_1) | instskip(NEXT) | instid1(VALU_DEP_2)
	v_add_co_ci_u32_e64 v102, s0, s5, v26, s0
	v_add_co_u32 v0, s0, 0x1000, v101
	s_delay_alu instid0(VALU_DEP_1) | instskip(SKIP_2) | instid1(VALU_DEP_1)
	v_add_co_ci_u32_e64 v1, s0, 0, v102, s0
	global_load_b128 v[4:7], v[0:1], off offset:1504
	v_lshlrev_b64 v[0:1], 4, v[104:105]
	v_add_co_u32 v99, s0, s4, v0
	s_delay_alu instid0(VALU_DEP_1) | instskip(SKIP_2) | instid1(VALU_DEP_1)
	v_add_co_ci_u32_e64 v100, s0, s5, v1, s0
	ds_load_b128 v[0:3], v123 offset:21504
	v_add_co_u32 v20, s0, 0x1000, v99
	v_add_co_ci_u32_e64 v21, s0, 0, v100, s0
	v_add_co_u32 v28, s0, 0x2000, v99
	s_delay_alu instid0(VALU_DEP_1)
	v_add_co_ci_u32_e64 v29, s0, 0, v100, s0
	s_clause 0x1
	global_load_b128 v[8:11], v[20:21], off offset:3040
	global_load_b128 v[16:19], v[20:21], off offset:1888
	v_cmp_gt_u32_e64 s0, 0x48, v104
	s_waitcnt vmcnt(2) lgkmcnt(1)
	v_mul_f64 v[22:23], v[14:15], v[6:7]
	v_mul_f64 v[6:7], v[12:13], v[6:7]
	s_delay_alu instid0(VALU_DEP_2) | instskip(NEXT) | instid1(VALU_DEP_2)
	v_fma_f64 v[68:69], v[12:13], v[4:5], -v[22:23]
	v_fma_f64 v[70:71], v[14:15], v[4:5], v[6:7]
	ds_load_b128 v[4:7], v123 offset:24576
	ds_load_b128 v[12:15], v123 offset:26112
	global_load_b128 v[20:23], v[20:21], off offset:3424
	s_waitcnt vmcnt(2) lgkmcnt(1)
	v_mul_f64 v[24:25], v[6:7], v[10:11]
	s_delay_alu instid0(VALU_DEP_1) | instskip(SKIP_1) | instid1(VALU_DEP_1)
	v_fma_f64 v[76:77], v[4:5], v[8:9], -v[24:25]
	v_mul_f64 v[4:5], v[4:5], v[10:11]
	v_fma_f64 v[78:79], v[6:7], v[8:9], v[4:5]
	s_clause 0x1
	global_load_b128 v[4:7], v[28:29], off offset:480
	global_load_b128 v[8:11], v[28:29], off offset:864
	s_waitcnt vmcnt(1) lgkmcnt(0)
	v_mul_f64 v[24:25], v[14:15], v[6:7]
	v_mul_f64 v[6:7], v[12:13], v[6:7]
	s_delay_alu instid0(VALU_DEP_2) | instskip(NEXT) | instid1(VALU_DEP_2)
	v_fma_f64 v[84:85], v[12:13], v[4:5], -v[24:25]
	v_fma_f64 v[86:87], v[14:15], v[4:5], v[6:7]
	v_and_b32_e32 v6, 0xffff, v58
	v_add_nc_u32_e32 v4, 0xffffffb8, v104
	s_delay_alu instid0(VALU_DEP_2) | instskip(NEXT) | instid1(VALU_DEP_2)
	v_mul_u32_u24_e32 v6, 0x2d83, v6
	v_cndmask_b32_e64 v96, v4, v52, s0
	s_delay_alu instid0(VALU_DEP_2) | instskip(NEXT) | instid1(VALU_DEP_2)
	v_lshrrev_b32_e32 v103, 22, v6
	v_lshlrev_b64 v[4:5], 4, v[96:97]
	s_delay_alu instid0(VALU_DEP_2) | instskip(NEXT) | instid1(VALU_DEP_2)
	v_mul_lo_u16 v6, 0x168, v103
	v_add_co_u32 v4, s0, s4, v4
	s_delay_alu instid0(VALU_DEP_1) | instskip(NEXT) | instid1(VALU_DEP_3)
	v_add_co_ci_u32_e64 v5, s0, s5, v5, s0
	v_sub_nc_u16 v6, v58, v6
	s_delay_alu instid0(VALU_DEP_3) | instskip(NEXT) | instid1(VALU_DEP_1)
	v_add_co_u32 v4, s0, 0x1000, v4
	v_add_co_ci_u32_e64 v5, s0, 0, v5, s0
	s_delay_alu instid0(VALU_DEP_3) | instskip(NEXT) | instid1(VALU_DEP_1)
	v_and_b32_e32 v6, 0xffff, v6
	v_lshlrev_b32_e32 v59, 4, v6
	s_delay_alu instid0(VALU_DEP_1) | instskip(NEXT) | instid1(VALU_DEP_1)
	v_add_co_u32 v6, s0, s4, v59
	v_add_co_ci_u32_e64 v7, null, s5, 0, s0
	s_delay_alu instid0(VALU_DEP_2) | instskip(NEXT) | instid1(VALU_DEP_1)
	v_add_co_u32 v12, s0, 0x1000, v6
	v_add_co_ci_u32_e64 v13, s0, 0, v7, s0
	s_clause 0x1
	global_load_b128 v[4:7], v[4:5], off offset:1504
	global_load_b128 v[12:15], v[12:13], off offset:1504
	ds_load_b128 v[24:27], v123 offset:27648
	ds_load_b128 v[30:33], v123 offset:29184
	s_waitcnt vmcnt(1) lgkmcnt(1)
	v_mul_f64 v[34:35], v[26:27], v[6:7]
	v_mul_f64 v[6:7], v[24:25], v[6:7]
	s_delay_alu instid0(VALU_DEP_2) | instskip(NEXT) | instid1(VALU_DEP_2)
	v_fma_f64 v[92:93], v[24:25], v[4:5], -v[34:35]
	v_fma_f64 v[24:25], v[26:27], v[4:5], v[6:7]
	s_waitcnt lgkmcnt(0)
	v_mul_f64 v[4:5], v[32:33], v[18:19]
	s_delay_alu instid0(VALU_DEP_1) | instskip(SKIP_1) | instid1(VALU_DEP_1)
	v_fma_f64 v[97:98], v[30:31], v[16:17], -v[4:5]
	v_mul_f64 v[4:5], v[30:31], v[18:19]
	v_fma_f64 v[106:107], v[32:33], v[16:17], v[4:5]
	ds_load_b128 v[4:7], v123 offset:30720
	ds_load_b128 v[16:19], v123 offset:32256
	s_waitcnt lgkmcnt(1)
	v_mul_f64 v[26:27], v[6:7], v[22:23]
	s_delay_alu instid0(VALU_DEP_1) | instskip(SKIP_1) | instid1(VALU_DEP_1)
	v_fma_f64 v[108:109], v[4:5], v[20:21], -v[26:27]
	v_mul_f64 v[4:5], v[4:5], v[22:23]
	v_fma_f64 v[110:111], v[6:7], v[20:21], v[4:5]
	s_waitcnt lgkmcnt(0)
	v_mul_f64 v[4:5], v[18:19], v[10:11]
	s_delay_alu instid0(VALU_DEP_1) | instskip(SKIP_1) | instid1(VALU_DEP_1)
	v_fma_f64 v[112:113], v[16:17], v[8:9], -v[4:5]
	v_mul_f64 v[4:5], v[16:17], v[10:11]
	v_fma_f64 v[136:137], v[18:19], v[8:9], v[4:5]
	ds_load_b128 v[4:7], v123 offset:33792
	ds_load_b128 v[8:11], v123 offset:35328
	s_waitcnt vmcnt(0) lgkmcnt(1)
	v_mul_f64 v[16:17], v[6:7], v[14:15]
	s_delay_alu instid0(VALU_DEP_1) | instskip(SKIP_1) | instid1(VALU_DEP_1)
	v_fma_f64 v[138:139], v[4:5], v[12:13], -v[16:17]
	v_mul_f64 v[4:5], v[4:5], v[14:15]
	v_fma_f64 v[140:141], v[6:7], v[12:13], v[4:5]
	scratch_load_b64 v[5:6], off, off offset:40 ; 8-byte Folded Reload
	s_waitcnt vmcnt(0)
	v_and_b32_e32 v4, 0xffff, v5
	s_delay_alu instid0(VALU_DEP_1) | instskip(NEXT) | instid1(VALU_DEP_1)
	v_mul_u32_u24_e32 v4, 0x2d83, v4
	v_lshrrev_b32_e32 v4, 22, v4
	s_delay_alu instid0(VALU_DEP_1) | instskip(NEXT) | instid1(VALU_DEP_1)
	v_mul_lo_u16 v4, 0x168, v4
	v_sub_nc_u16 v4, v5, v4
	v_add_nc_u32_e32 v5, 0x360, v104
	s_delay_alu instid0(VALU_DEP_2) | instskip(NEXT) | instid1(VALU_DEP_2)
	v_and_b32_e32 v4, 0xffff, v4
	v_and_b32_e32 v6, 0xffff, v5
	s_delay_alu instid0(VALU_DEP_2) | instskip(NEXT) | instid1(VALU_DEP_2)
	v_lshlrev_b32_e32 v61, 4, v4
	v_mul_u32_u24_e32 v6, 0x2d83, v6
	s_delay_alu instid0(VALU_DEP_2) | instskip(NEXT) | instid1(VALU_DEP_2)
	v_add_co_u32 v4, s0, s4, v61
	v_lshrrev_b32_e32 v6, 22, v6
	s_delay_alu instid0(VALU_DEP_1) | instskip(NEXT) | instid1(VALU_DEP_1)
	v_mul_lo_u16 v6, 0x168, v6
	v_sub_nc_u16 v6, v5, v6
	v_add_co_ci_u32_e64 v5, null, s5, 0, s0
	v_add_co_u32 v4, s0, 0x1000, v4
	s_delay_alu instid0(VALU_DEP_3) | instskip(NEXT) | instid1(VALU_DEP_3)
	v_and_b32_e32 v6, 0xffff, v6
	v_add_co_ci_u32_e64 v5, s0, 0, v5, s0
	s_delay_alu instid0(VALU_DEP_2) | instskip(NEXT) | instid1(VALU_DEP_1)
	v_lshlrev_b32_e32 v60, 4, v6
	v_add_co_u32 v6, s0, s4, v60
	s_delay_alu instid0(VALU_DEP_1) | instskip(NEXT) | instid1(VALU_DEP_2)
	v_add_co_ci_u32_e64 v7, null, s5, 0, s0
	v_add_co_u32 v12, s0, 0x1000, v6
	s_delay_alu instid0(VALU_DEP_1)
	v_add_co_ci_u32_e64 v13, s0, 0, v7, s0
	s_clause 0x1
	global_load_b128 v[4:7], v[4:5], off offset:1504
	global_load_b128 v[12:15], v[12:13], off offset:1504
	s_waitcnt vmcnt(1) lgkmcnt(0)
	v_mul_f64 v[16:17], v[10:11], v[6:7]
	v_mul_f64 v[6:7], v[8:9], v[6:7]
	s_delay_alu instid0(VALU_DEP_2) | instskip(NEXT) | instid1(VALU_DEP_2)
	v_fma_f64 v[32:33], v[8:9], v[4:5], -v[16:17]
	v_fma_f64 v[36:37], v[10:11], v[4:5], v[6:7]
	ds_load_b128 v[4:7], v123 offset:36864
	ds_load_b128 v[8:11], v123 offset:38400
	s_waitcnt vmcnt(0) lgkmcnt(1)
	v_mul_f64 v[16:17], v[6:7], v[14:15]
	s_delay_alu instid0(VALU_DEP_1) | instskip(SKIP_1) | instid1(VALU_DEP_1)
	v_fma_f64 v[30:31], v[4:5], v[12:13], -v[16:17]
	v_mul_f64 v[4:5], v[4:5], v[14:15]
	v_fma_f64 v[34:35], v[6:7], v[12:13], v[4:5]
	v_add_nc_u32_e32 v4, 0x3c0, v104
	s_delay_alu instid0(VALU_DEP_1) | instskip(NEXT) | instid1(VALU_DEP_1)
	v_and_b32_e32 v5, 0xffff, v4
	v_mul_u32_u24_e32 v5, 0x2d83, v5
	s_delay_alu instid0(VALU_DEP_1) | instskip(NEXT) | instid1(VALU_DEP_1)
	v_lshrrev_b32_e32 v5, 22, v5
	v_mul_lo_u16 v5, 0x168, v5
	s_delay_alu instid0(VALU_DEP_1) | instskip(SKIP_1) | instid1(VALU_DEP_2)
	v_sub_nc_u16 v4, v4, v5
	v_add_nc_u32_e32 v5, 0x420, v104
	v_and_b32_e32 v4, 0xffff, v4
	s_delay_alu instid0(VALU_DEP_2) | instskip(NEXT) | instid1(VALU_DEP_2)
	v_and_b32_e32 v6, 0xffff, v5
	v_lshlrev_b32_e32 v64, 4, v4
	s_delay_alu instid0(VALU_DEP_2) | instskip(NEXT) | instid1(VALU_DEP_2)
	v_mul_u32_u24_e32 v6, 0x2d83, v6
	v_add_co_u32 v4, s0, s4, v64
	s_delay_alu instid0(VALU_DEP_2) | instskip(NEXT) | instid1(VALU_DEP_1)
	v_lshrrev_b32_e32 v62, 22, v6
	v_mul_lo_u16 v6, 0x168, v62
	s_delay_alu instid0(VALU_DEP_1) | instskip(SKIP_2) | instid1(VALU_DEP_3)
	v_sub_nc_u16 v6, v5, v6
	v_add_co_ci_u32_e64 v5, null, s5, 0, s0
	v_add_co_u32 v4, s0, 0x1000, v4
	v_and_b32_e32 v6, 0xffff, v6
	s_delay_alu instid0(VALU_DEP_3) | instskip(NEXT) | instid1(VALU_DEP_2)
	v_add_co_ci_u32_e64 v5, s0, 0, v5, s0
	v_lshlrev_b32_e32 v63, 4, v6
	s_delay_alu instid0(VALU_DEP_1) | instskip(NEXT) | instid1(VALU_DEP_1)
	v_add_co_u32 v6, s0, s4, v63
	v_add_co_ci_u32_e64 v7, null, s5, 0, s0
	s_delay_alu instid0(VALU_DEP_2) | instskip(NEXT) | instid1(VALU_DEP_1)
	v_add_co_u32 v12, s0, 0x1000, v6
	v_add_co_ci_u32_e64 v13, s0, 0, v7, s0
	s_clause 0x1
	global_load_b128 v[4:7], v[4:5], off offset:1504
	global_load_b128 v[12:15], v[12:13], off offset:1504
	s_waitcnt vmcnt(1) lgkmcnt(0)
	v_mul_f64 v[16:17], v[10:11], v[6:7]
	v_mul_f64 v[6:7], v[8:9], v[6:7]
	s_delay_alu instid0(VALU_DEP_2) | instskip(NEXT) | instid1(VALU_DEP_2)
	v_fma_f64 v[40:41], v[8:9], v[4:5], -v[16:17]
	v_fma_f64 v[44:45], v[10:11], v[4:5], v[6:7]
	ds_load_b128 v[4:7], v123 offset:39936
	ds_load_b128 v[8:11], v123 offset:41472
	s_waitcnt vmcnt(0) lgkmcnt(1)
	v_mul_f64 v[16:17], v[6:7], v[14:15]
	s_delay_alu instid0(VALU_DEP_1) | instskip(SKIP_1) | instid1(VALU_DEP_1)
	v_fma_f64 v[38:39], v[4:5], v[12:13], -v[16:17]
	v_mul_f64 v[4:5], v[4:5], v[14:15]
	v_fma_f64 v[42:43], v[6:7], v[12:13], v[4:5]
	scratch_load_b64 v[5:6], off, off offset:48 ; 8-byte Folded Reload
	s_waitcnt vmcnt(0)
	v_and_b32_e32 v4, 0xffff, v5
	s_delay_alu instid0(VALU_DEP_1) | instskip(NEXT) | instid1(VALU_DEP_1)
	v_mul_u32_u24_e32 v4, 0x2d83, v4
	v_lshrrev_b32_e32 v4, 22, v4
	s_delay_alu instid0(VALU_DEP_1) | instskip(NEXT) | instid1(VALU_DEP_1)
	v_mul_lo_u16 v4, 0x168, v4
	v_sub_nc_u16 v4, v5, v4
	v_add_nc_u32_e32 v5, 0x4e0, v104
	s_delay_alu instid0(VALU_DEP_2) | instskip(NEXT) | instid1(VALU_DEP_2)
	v_and_b32_e32 v4, 0xffff, v4
	v_and_b32_e32 v6, 0xffff, v5
	s_delay_alu instid0(VALU_DEP_2) | instskip(NEXT) | instid1(VALU_DEP_2)
	v_lshlrev_b32_e32 v65, 4, v4
	v_mul_u32_u24_e32 v6, 0x2d83, v6
	s_delay_alu instid0(VALU_DEP_2) | instskip(NEXT) | instid1(VALU_DEP_2)
	v_add_co_u32 v4, s0, s4, v65
	v_lshrrev_b32_e32 v6, 22, v6
	s_delay_alu instid0(VALU_DEP_1) | instskip(NEXT) | instid1(VALU_DEP_1)
	v_mul_lo_u16 v6, 0x168, v6
	v_sub_nc_u16 v6, v5, v6
	v_add_co_ci_u32_e64 v5, null, s5, 0, s0
	v_add_co_u32 v4, s0, 0x1000, v4
	s_delay_alu instid0(VALU_DEP_3) | instskip(NEXT) | instid1(VALU_DEP_3)
	v_and_b32_e32 v6, 0xffff, v6
	v_add_co_ci_u32_e64 v5, s0, 0, v5, s0
	s_delay_alu instid0(VALU_DEP_2) | instskip(NEXT) | instid1(VALU_DEP_1)
	v_lshlrev_b32_e32 v66, 4, v6
	v_add_co_u32 v6, s0, s4, v66
	s_delay_alu instid0(VALU_DEP_1) | instskip(NEXT) | instid1(VALU_DEP_2)
	v_add_co_ci_u32_e64 v7, null, s5, 0, s0
	v_add_co_u32 v12, s0, 0x1000, v6
	s_delay_alu instid0(VALU_DEP_1)
	v_add_co_ci_u32_e64 v13, s0, 0, v7, s0
	s_clause 0x1
	global_load_b128 v[4:7], v[4:5], off offset:1504
	global_load_b128 v[12:15], v[12:13], off offset:1504
	s_waitcnt vmcnt(1) lgkmcnt(0)
	v_mul_f64 v[16:17], v[10:11], v[6:7]
	v_mul_f64 v[6:7], v[8:9], v[6:7]
	s_delay_alu instid0(VALU_DEP_2) | instskip(NEXT) | instid1(VALU_DEP_2)
	v_fma_f64 v[48:49], v[8:9], v[4:5], -v[16:17]
	v_fma_f64 v[52:53], v[10:11], v[4:5], v[6:7]
	ds_load_b128 v[4:7], v123 offset:43008
	ds_load_b128 v[8:11], v123 offset:44544
	s_waitcnt vmcnt(0) lgkmcnt(1)
	v_mul_f64 v[16:17], v[6:7], v[14:15]
	s_delay_alu instid0(VALU_DEP_1) | instskip(SKIP_1) | instid1(VALU_DEP_1)
	v_fma_f64 v[46:47], v[4:5], v[12:13], -v[16:17]
	v_mul_f64 v[4:5], v[4:5], v[14:15]
	v_fma_f64 v[50:51], v[6:7], v[12:13], v[4:5]
	v_add_nc_u32_e32 v4, 0x540, v104
	s_delay_alu instid0(VALU_DEP_1) | instskip(NEXT) | instid1(VALU_DEP_1)
	v_and_b32_e32 v5, 0xffff, v4
	v_mul_u32_u24_e32 v5, 0x2d83, v5
	s_delay_alu instid0(VALU_DEP_1) | instskip(NEXT) | instid1(VALU_DEP_1)
	v_lshrrev_b32_e32 v5, 22, v5
	v_mul_lo_u16 v5, 0x168, v5
	s_delay_alu instid0(VALU_DEP_1) | instskip(NEXT) | instid1(VALU_DEP_1)
	v_sub_nc_u16 v4, v4, v5
	v_and_b32_e32 v4, 0xffff, v4
	s_delay_alu instid0(VALU_DEP_1) | instskip(NEXT) | instid1(VALU_DEP_1)
	v_lshlrev_b32_e32 v67, 4, v4
	v_add_co_u32 v4, s0, s4, v67
	s_delay_alu instid0(VALU_DEP_1) | instskip(NEXT) | instid1(VALU_DEP_2)
	v_add_co_ci_u32_e64 v5, null, s5, 0, s0
	v_add_co_u32 v4, s0, 0x1000, v4
	s_delay_alu instid0(VALU_DEP_1)
	v_add_co_ci_u32_e64 v5, s0, 0, v5, s0
	v_cmp_lt_u32_e64 s0, 0x47, v104
	global_load_b128 v[4:7], v[4:5], off offset:1504
	s_waitcnt vmcnt(0) lgkmcnt(0)
	v_mul_f64 v[12:13], v[10:11], v[6:7]
	v_mul_f64 v[6:7], v[8:9], v[6:7]
	s_delay_alu instid0(VALU_DEP_2) | instskip(NEXT) | instid1(VALU_DEP_2)
	v_fma_f64 v[54:55], v[8:9], v[4:5], -v[12:13]
	v_fma_f64 v[56:57], v[10:11], v[4:5], v[6:7]
	ds_load_b128 v[4:7], v123
	ds_load_b128 v[8:11], v123 offset:1536
	s_waitcnt lgkmcnt(1)
	v_add_f64 v[68:69], v[4:5], -v[68:69]
	v_add_f64 v[70:71], v[6:7], -v[70:71]
	s_waitcnt lgkmcnt(0)
	v_add_f64 v[76:77], v[8:9], -v[76:77]
	v_add_f64 v[78:79], v[10:11], -v[78:79]
	s_delay_alu instid0(VALU_DEP_4) | instskip(NEXT) | instid1(VALU_DEP_4)
	v_fma_f64 v[72:73], v[4:5], 2.0, -v[68:69]
	v_fma_f64 v[74:75], v[6:7], 2.0, -v[70:71]
	s_delay_alu instid0(VALU_DEP_4) | instskip(NEXT) | instid1(VALU_DEP_4)
	v_fma_f64 v[80:81], v[8:9], 2.0, -v[76:77]
	v_fma_f64 v[82:83], v[10:11], 2.0, -v[78:79]
	ds_load_b128 v[4:7], v123 offset:3072
	ds_load_b128 v[8:11], v123 offset:4608
	s_waitcnt lgkmcnt(1)
	v_add_f64 v[84:85], v[4:5], -v[84:85]
	v_add_f64 v[86:87], v[6:7], -v[86:87]
	s_waitcnt lgkmcnt(0)
	v_add_f64 v[92:93], v[8:9], -v[92:93]
	v_add_f64 v[94:95], v[10:11], -v[24:25]
	s_delay_alu instid0(VALU_DEP_4) | instskip(NEXT) | instid1(VALU_DEP_4)
	v_fma_f64 v[88:89], v[4:5], 2.0, -v[84:85]
	v_fma_f64 v[90:91], v[6:7], 2.0, -v[86:87]
	s_delay_alu instid0(VALU_DEP_4) | instskip(NEXT) | instid1(VALU_DEP_4)
	v_fma_f64 v[114:115], v[8:9], 2.0, -v[92:93]
	v_fma_f64 v[116:117], v[10:11], 2.0, -v[94:95]
	ds_load_b128 v[118:121], v123 offset:6144
	ds_load_b128 v[124:127], v123 offset:7680
	;; [unrolled: 1-line block ×10, first 2 shown]
	s_waitcnt lgkmcnt(0)
	s_barrier
	buffer_gl0_inv
	ds_store_b128 v123, v[76:79] offset:7296
	ds_store_b128 v123, v[84:87] offset:8832
	ds_store_b128 v123, v[72:75]
	ds_store_b128 v123, v[80:83] offset:1536
	ds_store_b128 v123, v[68:71] offset:5760
	;; [unrolled: 1-line block ×3, first 2 shown]
	v_lshlrev_b32_e32 v68, 4, v96
	v_cndmask_b32_e64 v69, 0, 0x2d00, s0
	v_add_f64 v[70:71], v[120:121], -v[106:107]
	v_add_f64 v[76:77], v[124:125], -v[108:109]
	;; [unrolled: 1-line block ×4, first 2 shown]
	v_add3_u32 v68, 0, v69, v68
	ds_store_b128 v68, v[114:117]
	ds_store_b128 v68, v[92:95] offset:5760
	v_add_f64 v[68:69], v[118:119], -v[97:98]
	v_add_f64 v[86:87], v[130:131], -v[136:137]
	;; [unrolled: 1-line block ×4, first 2 shown]
	v_fma_f64 v[74:75], v[120:121], 2.0, -v[70:71]
	v_fma_f64 v[80:81], v[124:125], 2.0, -v[76:77]
	;; [unrolled: 1-line block ×6, first 2 shown]
	ds_store_b128 v123, v[72:75] offset:11904
	ds_store_b128 v123, v[80:83] offset:13440
	;; [unrolled: 1-line block ×6, first 2 shown]
	v_mul_u32_u24_e32 v68, 0x2d00, v103
	v_add_f64 v[70:71], v[26:27], -v[36:37]
	v_fma_f64 v[114:115], v[132:133], 2.0, -v[92:93]
	v_fma_f64 v[116:117], v[134:135], 2.0, -v[94:95]
	s_delay_alu instid0(VALU_DEP_4)
	v_add3_u32 v59, 0, v68, v59
	v_add_f64 v[68:69], v[24:25], -v[32:33]
	v_add_nc_u32_e32 v32, 0, v61
	ds_store_b128 v59, v[114:117]
	ds_store_b128 v59, v[92:95] offset:5760
	v_fma_f64 v[26:27], v[26:27], 2.0, -v[70:71]
	v_fma_f64 v[24:25], v[24:25], 2.0, -v[68:69]
	ds_store_b128 v32, v[24:27] offset:23040
	ds_store_b128 v32, v[68:71] offset:28800
	v_add_f64 v[24:25], v[20:21], -v[30:31]
	v_add_f64 v[26:27], v[22:23], -v[34:35]
	v_dual_mov_b32 v71, v105 :: v_dual_add_nc_u32 v30, 0, v60
	s_delay_alu instid0(VALU_DEP_3) | instskip(NEXT) | instid1(VALU_DEP_3)
	v_fma_f64 v[20:21], v[20:21], 2.0, -v[24:25]
	v_fma_f64 v[22:23], v[22:23], 2.0, -v[26:27]
	ds_store_b128 v30, v[20:23] offset:23040
	ds_store_b128 v30, v[24:27] offset:28800
	v_add_f64 v[20:21], v[16:17], -v[40:41]
	v_add_f64 v[22:23], v[18:19], -v[44:45]
	v_add_nc_u32_e32 v24, 0, v64
	v_add_nc_u32_e32 v25, 0, v66
	;; [unrolled: 1-line block ×3, first 2 shown]
	v_fma_f64 v[16:17], v[16:17], 2.0, -v[20:21]
	v_fma_f64 v[18:19], v[18:19], 2.0, -v[22:23]
	ds_store_b128 v24, v[16:19] offset:23040
	ds_store_b128 v24, v[20:23] offset:28800
	v_add_f64 v[16:17], v[12:13], -v[38:39]
	v_add_f64 v[18:19], v[14:15], -v[42:43]
	v_mul_u32_u24_e32 v20, 0x2d00, v62
	v_add_f64 v[22:23], v[2:3], -v[56:57]
	v_add_nc_u32_e32 v24, 0, v65
	s_delay_alu instid0(VALU_DEP_3)
	v_add3_u32 v20, 0, v20, v63
	v_fma_f64 v[12:13], v[12:13], 2.0, -v[16:17]
	v_fma_f64 v[14:15], v[14:15], 2.0, -v[18:19]
	ds_store_b128 v20, v[12:15]
	ds_store_b128 v20, v[16:19] offset:5760
	v_add_f64 v[12:13], v[8:9], -v[48:49]
	v_add_f64 v[14:15], v[10:11], -v[52:53]
	;; [unrolled: 1-line block ×5, first 2 shown]
	v_fma_f64 v[2:3], v[2:3], 2.0, -v[22:23]
	v_fma_f64 v[8:9], v[8:9], 2.0, -v[12:13]
	;; [unrolled: 1-line block ×6, first 2 shown]
	ds_store_b128 v24, v[8:11] offset:34560
	v_add_co_u32 v8, s0, 0x2000, v101
	s_delay_alu instid0(VALU_DEP_1)
	v_add_co_ci_u32_e64 v9, s0, 0, v102, s0
	ds_store_b128 v24, v[12:15] offset:40320
	ds_store_b128 v25, v[4:7] offset:34560
	;; [unrolled: 1-line block ×5, first 2 shown]
	s_waitcnt lgkmcnt(0)
	s_barrier
	buffer_gl0_inv
	s_clause 0x1
	global_load_b128 v[4:7], v[8:9], off offset:3168
	global_load_b128 v[16:19], v[28:29], off offset:3936
	v_add_co_u32 v24, s0, 0x3000, v99
	s_delay_alu instid0(VALU_DEP_1)
	v_add_co_ci_u32_e64 v25, s0, 0, v100, s0
	ds_load_b128 v[12:15], v123 offset:23040
	ds_load_b128 v[0:3], v123 offset:21504
	;; [unrolled: 1-line block ×3, first 2 shown]
	global_load_b128 v[8:11], v[24:25], off offset:608
	s_waitcnt vmcnt(2) lgkmcnt(2)
	v_mul_f64 v[26:27], v[14:15], v[6:7]
	v_mul_f64 v[6:7], v[12:13], v[6:7]
	s_delay_alu instid0(VALU_DEP_2) | instskip(NEXT) | instid1(VALU_DEP_2)
	v_fma_f64 v[36:37], v[12:13], v[4:5], -v[26:27]
	v_fma_f64 v[38:39], v[14:15], v[4:5], v[6:7]
	global_load_b128 v[12:15], v[24:25], off offset:1376
	ds_load_b128 v[4:7], v123 offset:26112
	s_waitcnt vmcnt(1) lgkmcnt(1)
	v_mul_f64 v[26:27], v[22:23], v[10:11]
	v_mul_f64 v[10:11], v[20:21], v[10:11]
	s_delay_alu instid0(VALU_DEP_2) | instskip(NEXT) | instid1(VALU_DEP_2)
	v_fma_f64 v[40:41], v[20:21], v[8:9], -v[26:27]
	v_fma_f64 v[42:43], v[22:23], v[8:9], v[10:11]
	s_clause 0x1
	global_load_b128 v[8:11], v[24:25], off offset:2144
	global_load_b128 v[20:23], v[24:25], off offset:2912
	s_waitcnt vmcnt(1) lgkmcnt(0)
	v_mul_f64 v[26:27], v[6:7], v[10:11]
	s_delay_alu instid0(VALU_DEP_1) | instskip(SKIP_1) | instid1(VALU_DEP_1)
	v_fma_f64 v[44:45], v[4:5], v[8:9], -v[26:27]
	v_mul_f64 v[4:5], v[4:5], v[10:11]
	v_fma_f64 v[46:47], v[6:7], v[8:9], v[4:5]
	scratch_load_b64 v[4:5], off, off offset:24 ; 8-byte Folded Reload
	s_waitcnt vmcnt(0)
	v_add_co_u32 v103, s0, s4, v4
	s_delay_alu instid0(VALU_DEP_1) | instskip(NEXT) | instid1(VALU_DEP_2)
	v_add_co_ci_u32_e64 v112, s0, s5, v5, s0
	v_add_co_u32 v8, s0, 0x2000, v103
	s_delay_alu instid0(VALU_DEP_1)
	v_add_co_ci_u32_e64 v9, s0, 0, v112, s0
	s_clause 0x1
	global_load_b128 v[4:7], v[24:25], off offset:3680
	global_load_b128 v[8:11], v[8:9], off offset:3168
	ds_load_b128 v[24:27], v123 offset:27648
	ds_load_b128 v[28:31], v123 offset:29184
	v_add_co_u32 v56, s0, 0x4000, v99
	s_delay_alu instid0(VALU_DEP_1) | instskip(SKIP_1) | instid1(VALU_DEP_1)
	v_add_co_ci_u32_e64 v57, s0, 0, v100, s0
	v_add_co_u32 v68, s0, 0x5000, v99
	v_add_co_ci_u32_e64 v69, s0, 0, v100, s0
	v_cmp_gt_u32_e64 s0, 48, v104
	s_waitcnt vmcnt(1) lgkmcnt(1)
	v_mul_f64 v[32:33], v[26:27], v[6:7]
	v_mul_f64 v[6:7], v[24:25], v[6:7]
	s_delay_alu instid0(VALU_DEP_2) | instskip(NEXT) | instid1(VALU_DEP_2)
	v_fma_f64 v[48:49], v[24:25], v[4:5], -v[32:33]
	v_fma_f64 v[50:51], v[26:27], v[4:5], v[6:7]
	s_waitcnt vmcnt(0) lgkmcnt(0)
	v_mul_f64 v[4:5], v[30:31], v[10:11]
	s_delay_alu instid0(VALU_DEP_1) | instskip(SKIP_1) | instid1(VALU_DEP_1)
	v_fma_f64 v[52:53], v[28:29], v[8:9], -v[4:5]
	v_mul_f64 v[4:5], v[28:29], v[10:11]
	v_fma_f64 v[54:55], v[30:31], v[8:9], v[4:5]
	global_load_b128 v[4:7], v[56:57], off offset:2656
	ds_load_b128 v[8:11], v123 offset:30720
	ds_load_b128 v[24:27], v123 offset:32256
	global_load_b128 v[28:31], v[56:57], off offset:3424
	s_waitcnt vmcnt(1) lgkmcnt(1)
	v_mul_f64 v[32:33], v[10:11], v[6:7]
	v_mul_f64 v[6:7], v[8:9], v[6:7]
	s_delay_alu instid0(VALU_DEP_2) | instskip(NEXT) | instid1(VALU_DEP_2)
	v_fma_f64 v[59:60], v[8:9], v[4:5], -v[32:33]
	v_fma_f64 v[61:62], v[10:11], v[4:5], v[6:7]
	s_clause 0x1
	global_load_b128 v[4:7], v[68:69], off offset:96
	global_load_b128 v[8:11], v[68:69], off offset:864
	s_waitcnt vmcnt(1) lgkmcnt(0)
	v_mul_f64 v[32:33], v[26:27], v[6:7]
	v_mul_f64 v[6:7], v[24:25], v[6:7]
	s_delay_alu instid0(VALU_DEP_2) | instskip(NEXT) | instid1(VALU_DEP_2)
	v_fma_f64 v[63:64], v[24:25], v[4:5], -v[32:33]
	v_fma_f64 v[65:66], v[26:27], v[4:5], v[6:7]
	v_subrev_nc_u32_e32 v4, 48, v104
	s_delay_alu instid0(VALU_DEP_1) | instskip(NEXT) | instid1(VALU_DEP_1)
	v_cndmask_b32_e64 v70, v4, v58, s0
	v_lshlrev_b64 v[4:5], 4, v[70:71]
	s_delay_alu instid0(VALU_DEP_1) | instskip(NEXT) | instid1(VALU_DEP_1)
	v_add_co_u32 v4, s0, s4, v4
	v_add_co_ci_u32_e64 v5, s0, s5, v5, s0
	s_delay_alu instid0(VALU_DEP_2) | instskip(NEXT) | instid1(VALU_DEP_1)
	v_add_co_u32 v4, s0, 0x2000, v4
	v_add_co_ci_u32_e64 v5, s0, 0, v5, s0
	v_cmp_lt_u32_e64 s0, 47, v104
	global_load_b128 v[4:7], v[4:5], off offset:3168
	ds_load_b128 v[24:27], v123 offset:33792
	ds_load_b128 v[32:35], v123 offset:35328
	s_waitcnt vmcnt(0) lgkmcnt(1)
	v_mul_f64 v[71:72], v[26:27], v[6:7]
	v_mul_f64 v[6:7], v[24:25], v[6:7]
	s_delay_alu instid0(VALU_DEP_2) | instskip(NEXT) | instid1(VALU_DEP_2)
	v_fma_f64 v[106:107], v[24:25], v[4:5], -v[71:72]
	v_fma_f64 v[108:109], v[26:27], v[4:5], v[6:7]
	s_waitcnt lgkmcnt(0)
	v_mul_f64 v[4:5], v[34:35], v[18:19]
	s_delay_alu instid0(VALU_DEP_1) | instskip(SKIP_1) | instid1(VALU_DEP_1)
	v_fma_f64 v[71:72], v[32:33], v[16:17], -v[4:5]
	v_mul_f64 v[4:5], v[32:33], v[18:19]
	v_fma_f64 v[73:74], v[34:35], v[16:17], v[4:5]
	ds_load_b128 v[4:7], v123 offset:36864
	ds_load_b128 v[16:19], v123 offset:38400
	s_waitcnt lgkmcnt(1)
	v_mul_f64 v[24:25], v[6:7], v[14:15]
	s_delay_alu instid0(VALU_DEP_1) | instskip(SKIP_1) | instid1(VALU_DEP_1)
	v_fma_f64 v[75:76], v[4:5], v[12:13], -v[24:25]
	v_mul_f64 v[4:5], v[4:5], v[14:15]
	v_fma_f64 v[79:80], v[6:7], v[12:13], v[4:5]
	s_waitcnt lgkmcnt(0)
	v_mul_f64 v[4:5], v[18:19], v[22:23]
	s_delay_alu instid0(VALU_DEP_1) | instskip(SKIP_1) | instid1(VALU_DEP_1)
	v_fma_f64 v[77:78], v[16:17], v[20:21], -v[4:5]
	v_mul_f64 v[4:5], v[16:17], v[22:23]
	v_fma_f64 v[81:82], v[18:19], v[20:21], v[4:5]
	s_clause 0x1
	global_load_b128 v[4:7], v[56:57], off offset:352
	global_load_b128 v[12:15], v[56:57], off offset:1888
	ds_load_b128 v[16:19], v123 offset:39936
	ds_load_b128 v[20:23], v123 offset:41472
	s_waitcnt vmcnt(1) lgkmcnt(1)
	v_mul_f64 v[24:25], v[18:19], v[6:7]
	v_mul_f64 v[6:7], v[16:17], v[6:7]
	s_delay_alu instid0(VALU_DEP_2) | instskip(NEXT) | instid1(VALU_DEP_2)
	v_fma_f64 v[83:84], v[16:17], v[4:5], -v[24:25]
	v_fma_f64 v[87:88], v[18:19], v[4:5], v[6:7]
	s_waitcnt vmcnt(0) lgkmcnt(0)
	v_mul_f64 v[4:5], v[22:23], v[14:15]
	s_delay_alu instid0(VALU_DEP_1) | instskip(SKIP_1) | instid1(VALU_DEP_1)
	v_fma_f64 v[85:86], v[20:21], v[12:13], -v[4:5]
	v_mul_f64 v[4:5], v[20:21], v[14:15]
	v_fma_f64 v[89:90], v[22:23], v[12:13], v[4:5]
	ds_load_b128 v[4:7], v123 offset:43008
	ds_load_b128 v[12:15], v123 offset:44544
	s_waitcnt lgkmcnt(1)
	v_mul_f64 v[16:17], v[6:7], v[30:31]
	s_delay_alu instid0(VALU_DEP_1) | instskip(SKIP_1) | instid1(VALU_DEP_1)
	v_fma_f64 v[91:92], v[4:5], v[28:29], -v[16:17]
	v_mul_f64 v[4:5], v[4:5], v[30:31]
	v_fma_f64 v[95:96], v[6:7], v[28:29], v[4:5]
	s_waitcnt lgkmcnt(0)
	v_mul_f64 v[4:5], v[14:15], v[10:11]
	s_delay_alu instid0(VALU_DEP_1) | instskip(SKIP_1) | instid1(VALU_DEP_1)
	v_fma_f64 v[93:94], v[12:13], v[8:9], -v[4:5]
	v_mul_f64 v[4:5], v[12:13], v[10:11]
	v_fma_f64 v[97:98], v[14:15], v[8:9], v[4:5]
	ds_load_b128 v[8:11], v123
	ds_load_b128 v[12:15], v123 offset:1536
	ds_load_b128 v[16:19], v123 offset:3072
	;; [unrolled: 1-line block ×5, first 2 shown]
	s_waitcnt lgkmcnt(5)
	v_add_f64 v[4:5], v[8:9], -v[36:37]
	s_waitcnt lgkmcnt(4)
	v_add_f64 v[113:114], v[12:13], -v[40:41]
	;; [unrolled: 2-line block ×3, first 2 shown]
	v_add_f64 v[130:131], v[26:27], -v[54:55]
	s_waitcnt lgkmcnt(0)
	v_add_f64 v[132:133], v[32:33], -v[59:60]
	v_add_f64 v[134:135], v[34:35], -v[61:62]
	;; [unrolled: 1-line block ×8, first 2 shown]
	v_fma_f64 v[8:9], v[8:9], 2.0, -v[4:5]
	v_fma_f64 v[12:13], v[12:13], 2.0, -v[113:114]
	;; [unrolled: 1-line block ×6, first 2 shown]
	ds_load_b128 v[24:27], v123 offset:9216
	ds_load_b128 v[32:35], v123 offset:10752
	v_fma_f64 v[10:11], v[10:11], 2.0, -v[6:7]
	v_fma_f64 v[14:15], v[14:15], 2.0, -v[115:116]
	;; [unrolled: 1-line block ×6, first 2 shown]
	s_waitcnt lgkmcnt(1)
	v_add_f64 v[136:137], v[24:25], -v[63:64]
	s_waitcnt lgkmcnt(0)
	v_add_f64 v[36:37], v[32:33], -v[106:107]
	v_add_f64 v[38:39], v[34:35], -v[108:109]
	;; [unrolled: 1-line block ×3, first 2 shown]
	s_delay_alu instid0(VALU_DEP_4) | instskip(NEXT) | instid1(VALU_DEP_4)
	v_fma_f64 v[48:49], v[24:25], 2.0, -v[136:137]
	v_fma_f64 v[44:45], v[32:33], 2.0, -v[36:37]
	s_delay_alu instid0(VALU_DEP_4) | instskip(NEXT) | instid1(VALU_DEP_4)
	v_fma_f64 v[46:47], v[34:35], 2.0, -v[38:39]
	v_fma_f64 v[50:51], v[26:27], 2.0, -v[138:139]
	ds_load_b128 v[32:35], v123 offset:12288
	ds_load_b128 v[24:27], v123 offset:13824
	ds_load_b128 v[56:59], v123 offset:15360
	ds_load_b128 v[52:55], v123 offset:16896
	ds_load_b128 v[64:67], v123 offset:18432
	ds_load_b128 v[60:63], v123 offset:19968
	s_waitcnt lgkmcnt(0)
	s_barrier
	buffer_gl0_inv
	ds_store_b128 v123, v[113:116] offset:13056
	ds_store_b128 v123, v[117:120] offset:14592
	;; [unrolled: 1-line block ×6, first 2 shown]
	ds_store_b128 v123, v[8:11]
	ds_store_b128 v123, v[12:15] offset:1536
	ds_store_b128 v123, v[16:19] offset:3072
	;; [unrolled: 1-line block ×7, first 2 shown]
	v_lshlrev_b32_e32 v4, 4, v70
	v_cndmask_b32_e64 v5, 0, 0x5a00, s0
	v_add_f64 v[6:7], v[34:35], -v[73:74]
	v_add_f64 v[28:29], v[52:53], -v[83:84]
	;; [unrolled: 1-line block ×4, first 2 shown]
	v_add3_u32 v4, 0, v5, v4
	ds_store_b128 v4, v[44:47]
	ds_store_b128 v4, v[36:39] offset:11520
	v_add_f64 v[4:5], v[32:33], -v[71:72]
	v_add_f64 v[14:15], v[26:27], -v[79:80]
	v_add_f64 v[20:21], v[56:57], -v[77:78]
	v_add_f64 v[22:23], v[58:59], -v[81:82]
	v_add_f64 v[36:37], v[64:65], -v[85:86]
	v_add_f64 v[38:39], v[66:67], -v[89:90]
	v_add_f64 v[44:45], v[60:61], -v[91:92]
	v_add_f64 v[46:47], v[62:63], -v[95:96]
	v_fma_f64 v[10:11], v[34:35], 2.0, -v[6:7]
	v_fma_f64 v[34:35], v[54:55], 2.0, -v[30:31]
	v_add_f64 v[54:55], v[2:3], -v[97:98]
	v_fma_f64 v[16:17], v[24:25], 2.0, -v[12:13]
	v_fma_f64 v[8:9], v[32:33], 2.0, -v[4:5]
	;; [unrolled: 1-line block ×3, first 2 shown]
	v_add_f64 v[52:53], v[0:1], -v[93:94]
	v_fma_f64 v[18:19], v[26:27], 2.0, -v[14:15]
	v_fma_f64 v[24:25], v[56:57], 2.0, -v[20:21]
	;; [unrolled: 1-line block ×7, first 2 shown]
	ds_store_b128 v123, v[8:11] offset:23808
	ds_store_b128 v123, v[16:19] offset:25344
	;; [unrolled: 1-line block ×7, first 2 shown]
	v_fma_f64 v[0:1], v[0:1], 2.0, -v[52:53]
	v_fma_f64 v[2:3], v[2:3], 2.0, -v[54:55]
	v_add_co_u32 v8, s0, 0x5000, v101
	s_delay_alu instid0(VALU_DEP_1)
	v_add_co_ci_u32_e64 v9, s0, 0, v102, s0
	ds_store_b128 v123, v[36:39] offset:41472
	ds_store_b128 v123, v[40:43] offset:29952
	;; [unrolled: 1-line block ×7, first 2 shown]
	s_waitcnt lgkmcnt(0)
	s_barrier
	buffer_gl0_inv
	s_clause 0x1
	global_load_b128 v[0:3], v[8:9], off offset:2400
	global_load_b128 v[4:7], v[68:69], off offset:3936
	v_add_co_u32 v12, s0, 0x6000, v99
	s_delay_alu instid0(VALU_DEP_1)
	v_add_co_ci_u32_e64 v13, s0, 0, v100, s0
	s_clause 0x1
	global_load_b128 v[8:11], v[12:13], off offset:1376
	global_load_b128 v[12:15], v[12:13], off offset:2912
	ds_load_b128 v[16:19], v123 offset:23040
	ds_load_b128 v[20:23], v123 offset:21504
	;; [unrolled: 1-line block ×3, first 2 shown]
	s_waitcnt vmcnt(3) lgkmcnt(2)
	v_mul_f64 v[28:29], v[18:19], v[2:3]
	v_mul_f64 v[2:3], v[16:17], v[2:3]
	s_delay_alu instid0(VALU_DEP_2) | instskip(NEXT) | instid1(VALU_DEP_2)
	v_fma_f64 v[16:17], v[16:17], v[0:1], -v[28:29]
	v_fma_f64 v[18:19], v[18:19], v[0:1], v[2:3]
	ds_load_b128 v[0:3], v123 offset:26112
	s_waitcnt vmcnt(2) lgkmcnt(1)
	v_mul_f64 v[28:29], v[26:27], v[6:7]
	v_mul_f64 v[6:7], v[24:25], v[6:7]
	s_delay_alu instid0(VALU_DEP_2) | instskip(SKIP_3) | instid1(VALU_DEP_4)
	v_fma_f64 v[24:25], v[24:25], v[4:5], -v[28:29]
	s_waitcnt vmcnt(1) lgkmcnt(0)
	v_mul_f64 v[28:29], v[2:3], v[10:11]
	v_mul_f64 v[10:11], v[0:1], v[10:11]
	v_fma_f64 v[26:27], v[26:27], v[4:5], v[6:7]
	ds_load_b128 v[4:7], v123 offset:27648
	v_fma_f64 v[28:29], v[0:1], v[8:9], -v[28:29]
	v_fma_f64 v[30:31], v[2:3], v[8:9], v[10:11]
	ds_load_b128 v[0:3], v123 offset:29184
	s_waitcnt vmcnt(0) lgkmcnt(1)
	v_mul_f64 v[8:9], v[6:7], v[14:15]
	v_mul_f64 v[10:11], v[4:5], v[14:15]
	v_add_co_u32 v14, s0, 0x5000, v103
	s_delay_alu instid0(VALU_DEP_1) | instskip(NEXT) | instid1(VALU_DEP_4)
	v_add_co_ci_u32_e64 v15, s0, 0, v112, s0
	v_fma_f64 v[32:33], v[4:5], v[12:13], -v[8:9]
	s_delay_alu instid0(VALU_DEP_4) | instskip(SKIP_2) | instid1(VALU_DEP_1)
	v_fma_f64 v[34:35], v[6:7], v[12:13], v[10:11]
	global_load_b128 v[4:7], v[14:15], off offset:2400
	v_add_co_u32 v12, s0, 0x7000, v99
	v_add_co_ci_u32_e64 v13, s0, 0, v100, s0
	global_load_b128 v[8:11], v[12:13], off offset:1888
	s_waitcnt vmcnt(1) lgkmcnt(0)
	v_mul_f64 v[14:15], v[2:3], v[6:7]
	s_delay_alu instid0(VALU_DEP_1) | instskip(SKIP_1) | instid1(VALU_DEP_1)
	v_fma_f64 v[44:45], v[0:1], v[4:5], -v[14:15]
	v_mul_f64 v[0:1], v[0:1], v[6:7]
	v_fma_f64 v[46:47], v[2:3], v[4:5], v[0:1]
	ds_load_b128 v[0:3], v123 offset:30720
	ds_load_b128 v[4:7], v123 offset:32256
	s_waitcnt vmcnt(0) lgkmcnt(1)
	v_mul_f64 v[14:15], v[2:3], v[10:11]
	s_delay_alu instid0(VALU_DEP_1) | instskip(SKIP_2) | instid1(VALU_DEP_1)
	v_fma_f64 v[48:49], v[0:1], v[8:9], -v[14:15]
	v_mul_f64 v[0:1], v[0:1], v[10:11]
	v_add_co_u32 v14, s0, 0x8000, v99
	v_add_co_ci_u32_e64 v15, s0, 0, v100, s0
	s_delay_alu instid0(VALU_DEP_3)
	v_fma_f64 v[50:51], v[2:3], v[8:9], v[0:1]
	s_clause 0x1
	global_load_b128 v[0:3], v[12:13], off offset:3424
	global_load_b128 v[8:11], v[14:15], off offset:864
	s_waitcnt vmcnt(1) lgkmcnt(0)
	v_mul_f64 v[12:13], v[6:7], v[2:3]
	v_mul_f64 v[2:3], v[4:5], v[2:3]
	s_delay_alu instid0(VALU_DEP_2) | instskip(NEXT) | instid1(VALU_DEP_2)
	v_fma_f64 v[60:61], v[4:5], v[0:1], -v[12:13]
	v_fma_f64 v[62:63], v[6:7], v[0:1], v[2:3]
	ds_load_b128 v[0:3], v123 offset:33792
	ds_load_b128 v[4:7], v123 offset:35328
	s_waitcnt vmcnt(0) lgkmcnt(1)
	v_mul_f64 v[12:13], v[2:3], v[10:11]
	s_delay_alu instid0(VALU_DEP_1) | instskip(SKIP_1) | instid1(VALU_DEP_1)
	v_fma_f64 v[64:65], v[0:1], v[8:9], -v[12:13]
	v_mul_f64 v[0:1], v[0:1], v[10:11]
	v_fma_f64 v[66:67], v[2:3], v[8:9], v[0:1]
	scratch_load_b64 v[0:1], off, off offset:8 ; 8-byte Folded Reload
	s_waitcnt vmcnt(0)
	v_add_co_u32 v0, s0, s4, v0
	s_delay_alu instid0(VALU_DEP_1) | instskip(NEXT) | instid1(VALU_DEP_2)
	v_add_co_ci_u32_e64 v1, s0, s5, v1, s0
	v_add_co_u32 v0, s0, 0x5000, v0
	s_delay_alu instid0(VALU_DEP_1)
	v_add_co_ci_u32_e64 v1, s0, 0, v1, s0
	s_clause 0x1
	global_load_b128 v[0:3], v[0:1], off offset:2400
	global_load_b128 v[8:11], v[14:15], off offset:3936
	s_waitcnt vmcnt(1) lgkmcnt(0)
	v_mul_f64 v[12:13], v[6:7], v[2:3]
	v_mul_f64 v[2:3], v[4:5], v[2:3]
	s_delay_alu instid0(VALU_DEP_2) | instskip(NEXT) | instid1(VALU_DEP_2)
	v_fma_f64 v[76:77], v[4:5], v[0:1], -v[12:13]
	v_fma_f64 v[78:79], v[6:7], v[0:1], v[2:3]
	ds_load_b128 v[0:3], v123 offset:36864
	ds_load_b128 v[4:7], v123 offset:38400
	s_waitcnt vmcnt(0) lgkmcnt(1)
	v_mul_f64 v[12:13], v[2:3], v[10:11]
	s_delay_alu instid0(VALU_DEP_1) | instskip(SKIP_1) | instid1(VALU_DEP_1)
	v_fma_f64 v[80:81], v[0:1], v[8:9], -v[12:13]
	v_mul_f64 v[0:1], v[0:1], v[10:11]
	v_fma_f64 v[82:83], v[2:3], v[8:9], v[0:1]
	v_add_co_u32 v8, s0, 0x9000, v99
	s_delay_alu instid0(VALU_DEP_1)
	v_add_co_ci_u32_e64 v9, s0, 0, v100, s0
	s_clause 0x1
	global_load_b128 v[0:3], v[8:9], off offset:1376
	global_load_b128 v[8:11], v[8:9], off offset:2912
	s_waitcnt vmcnt(1) lgkmcnt(0)
	v_mul_f64 v[12:13], v[6:7], v[2:3]
	v_mul_f64 v[2:3], v[4:5], v[2:3]
	s_delay_alu instid0(VALU_DEP_2) | instskip(NEXT) | instid1(VALU_DEP_2)
	v_fma_f64 v[92:93], v[4:5], v[0:1], -v[12:13]
	v_fma_f64 v[94:95], v[6:7], v[0:1], v[2:3]
	ds_load_b128 v[0:3], v123 offset:39936
	ds_load_b128 v[4:7], v123 offset:41472
	s_waitcnt vmcnt(0) lgkmcnt(1)
	v_mul_f64 v[12:13], v[2:3], v[10:11]
	s_delay_alu instid0(VALU_DEP_1) | instskip(SKIP_1) | instid1(VALU_DEP_1)
	v_fma_f64 v[96:97], v[0:1], v[8:9], -v[12:13]
	v_mul_f64 v[0:1], v[0:1], v[10:11]
	v_fma_f64 v[101:102], v[2:3], v[8:9], v[0:1]
	scratch_load_b64 v[0:1], off, off offset:16 ; 8-byte Folded Reload
	s_waitcnt vmcnt(0)
	v_add_co_u32 v0, s0, s4, v0
	s_delay_alu instid0(VALU_DEP_1) | instskip(NEXT) | instid1(VALU_DEP_2)
	v_add_co_ci_u32_e64 v1, s0, s5, v1, s0
	v_add_co_u32 v0, s0, 0x5000, v0
	s_delay_alu instid0(VALU_DEP_1) | instskip(SKIP_1) | instid1(VALU_DEP_1)
	v_add_co_ci_u32_e64 v1, s0, 0, v1, s0
	v_add_co_u32 v12, s0, 0xa000, v99
	v_add_co_ci_u32_e64 v13, s0, 0, v100, s0
	s_clause 0x1
	global_load_b128 v[0:3], v[0:1], off offset:2400
	global_load_b128 v[8:11], v[12:13], off offset:1888
	s_waitcnt vmcnt(1) lgkmcnt(0)
	v_mul_f64 v[14:15], v[6:7], v[2:3]
	v_mul_f64 v[2:3], v[4:5], v[2:3]
	s_delay_alu instid0(VALU_DEP_2) | instskip(NEXT) | instid1(VALU_DEP_2)
	v_fma_f64 v[106:107], v[4:5], v[0:1], -v[14:15]
	v_fma_f64 v[114:115], v[6:7], v[0:1], v[2:3]
	ds_load_b128 v[0:3], v123 offset:43008
	ds_load_b128 v[4:7], v123 offset:44544
	s_waitcnt vmcnt(0) lgkmcnt(1)
	v_mul_f64 v[14:15], v[2:3], v[10:11]
	s_delay_alu instid0(VALU_DEP_1) | instskip(SKIP_1) | instid1(VALU_DEP_1)
	v_fma_f64 v[116:117], v[0:1], v[8:9], -v[14:15]
	v_mul_f64 v[0:1], v[0:1], v[10:11]
	v_fma_f64 v[118:119], v[2:3], v[8:9], v[0:1]
	global_load_b128 v[0:3], v[12:13], off offset:3424
	s_waitcnt vmcnt(0) lgkmcnt(0)
	v_mul_f64 v[8:9], v[6:7], v[2:3]
	v_mul_f64 v[2:3], v[4:5], v[2:3]
	s_delay_alu instid0(VALU_DEP_2) | instskip(NEXT) | instid1(VALU_DEP_2)
	v_fma_f64 v[120:121], v[4:5], v[0:1], -v[8:9]
	v_fma_f64 v[126:127], v[6:7], v[0:1], v[2:3]
	ds_load_b128 v[0:3], v123
	ds_load_b128 v[4:7], v123 offset:1536
	s_waitcnt lgkmcnt(1)
	v_add_f64 v[8:9], v[0:1], -v[16:17]
	v_add_f64 v[10:11], v[2:3], -v[18:19]
	s_waitcnt lgkmcnt(0)
	v_add_f64 v[12:13], v[4:5], -v[24:25]
	v_add_f64 v[14:15], v[6:7], -v[26:27]
	ds_load_b128 v[16:19], v123 offset:3072
	ds_load_b128 v[24:27], v123 offset:4608
	ds_load_b128 v[36:39], v123 offset:6144
	ds_load_b128 v[40:43], v123 offset:7680
	ds_load_b128 v[52:55], v123 offset:9216
	ds_load_b128 v[56:59], v123 offset:10752
	ds_load_b128 v[68:71], v123 offset:12288
	ds_load_b128 v[72:75], v123 offset:13824
	ds_load_b128 v[84:87], v123 offset:15360
	ds_load_b128 v[88:91], v123 offset:16896
	v_add_f64 v[124:125], v[20:21], -v[120:121]
	v_add_f64 v[126:127], v[22:23], -v[126:127]
	s_waitcnt lgkmcnt(9)
	v_add_f64 v[28:29], v[16:17], -v[28:29]
	v_add_f64 v[30:31], v[18:19], -v[30:31]
	s_waitcnt lgkmcnt(8)
	v_add_f64 v[32:33], v[24:25], -v[32:33]
	v_add_f64 v[34:35], v[26:27], -v[34:35]
	s_waitcnt lgkmcnt(7)
	v_add_f64 v[44:45], v[36:37], -v[44:45]
	s_waitcnt lgkmcnt(0)
	v_add_f64 v[98:99], v[90:91], -v[101:102]
	ds_load_b128 v[100:103], v123 offset:18432
	ds_load_b128 v[108:111], v123 offset:19968
	v_add_f64 v[46:47], v[38:39], -v[46:47]
	v_add_f64 v[48:49], v[40:41], -v[48:49]
	;; [unrolled: 1-line block ×14, first 2 shown]
	v_fma_f64 v[0:1], v[0:1], 2.0, -v[8:9]
	v_fma_f64 v[2:3], v[2:3], 2.0, -v[10:11]
	v_fma_f64 v[4:5], v[4:5], 2.0, -v[12:13]
	v_fma_f64 v[6:7], v[6:7], 2.0, -v[14:15]
	s_waitcnt lgkmcnt(1)
	v_add_f64 v[112:113], v[100:101], -v[106:107]
	v_add_f64 v[114:115], v[102:103], -v[114:115]
	s_waitcnt lgkmcnt(0)
	v_add_f64 v[116:117], v[108:109], -v[116:117]
	v_add_f64 v[118:119], v[110:111], -v[118:119]
	s_barrier
	buffer_gl0_inv
	v_fma_f64 v[20:21], v[20:21], 2.0, -v[124:125]
	v_fma_f64 v[22:23], v[22:23], 2.0, -v[126:127]
	v_fma_f64 v[16:17], v[16:17], 2.0, -v[28:29]
	v_fma_f64 v[18:19], v[18:19], 2.0, -v[30:31]
	v_fma_f64 v[24:25], v[24:25], 2.0, -v[32:33]
	v_fma_f64 v[26:27], v[26:27], 2.0, -v[34:35]
	v_fma_f64 v[36:37], v[36:37], 2.0, -v[44:45]
	v_fma_f64 v[90:91], v[90:91], 2.0, -v[98:99]
	v_fma_f64 v[38:39], v[38:39], 2.0, -v[46:47]
	v_fma_f64 v[40:41], v[40:41], 2.0, -v[48:49]
	v_fma_f64 v[42:43], v[42:43], 2.0, -v[50:51]
	v_fma_f64 v[52:53], v[52:53], 2.0, -v[60:61]
	v_fma_f64 v[54:55], v[54:55], 2.0, -v[62:63]
	v_fma_f64 v[56:57], v[56:57], 2.0, -v[64:65]
	v_fma_f64 v[58:59], v[58:59], 2.0, -v[66:67]
	v_fma_f64 v[68:69], v[68:69], 2.0, -v[76:77]
	v_fma_f64 v[70:71], v[70:71], 2.0, -v[78:79]
	v_fma_f64 v[72:73], v[72:73], 2.0, -v[80:81]
	v_fma_f64 v[74:75], v[74:75], 2.0, -v[82:83]
	v_fma_f64 v[84:85], v[84:85], 2.0, -v[92:93]
	v_fma_f64 v[86:87], v[86:87], 2.0, -v[94:95]
	v_fma_f64 v[88:89], v[88:89], 2.0, -v[96:97]
	v_fma_f64 v[100:101], v[100:101], 2.0, -v[112:113]
	v_fma_f64 v[102:103], v[102:103], 2.0, -v[114:115]
	v_fma_f64 v[108:109], v[108:109], 2.0, -v[116:117]
	v_fma_f64 v[110:111], v[110:111], 2.0, -v[118:119]
	ds_store_b128 v123, v[12:15] offset:24576
	ds_store_b128 v123, v[28:31] offset:26112
	;; [unrolled: 1-line block ×14, first 2 shown]
	ds_store_b128 v123, v[0:3]
	ds_store_b128 v123, v[4:7] offset:1536
	ds_store_b128 v123, v[16:19] offset:3072
	;; [unrolled: 1-line block ×15, first 2 shown]
	s_waitcnt lgkmcnt(0)
	s_barrier
	buffer_gl0_inv
	s_and_saveexec_b32 s0, vcc_lo
	s_cbranch_execz .LBB0_19
; %bb.18:
	scratch_load_b64 v[0:1], off, off       ; 8-byte Folded Reload
	v_lshl_add_u32 v34, v104, 4, 0
	v_dual_mov_b32 v9, v105 :: v_dual_add_nc_u32 v8, 0x60, v104
	v_dual_mov_b32 v11, v105 :: v_dual_add_nc_u32 v10, 0xc0, v104
	;; [unrolled: 1-line block ×3, first 2 shown]
	s_delay_alu instid0(VALU_DEP_3) | instskip(SKIP_1) | instid1(VALU_DEP_4)
	v_lshlrev_b64 v[18:19], 4, v[8:9]
	v_dual_mov_b32 v25, v105 :: v_dual_add_nc_u32 v24, 0x180, v104
	v_lshlrev_b64 v[20:21], 4, v[10:11]
	s_delay_alu instid0(VALU_DEP_4) | instskip(SKIP_4) | instid1(VALU_DEP_1)
	v_lshlrev_b64 v[22:23], 4, v[22:23]
	s_waitcnt vmcnt(0)
	v_add_co_u32 v36, vcc_lo, s8, v0
	v_add_co_ci_u32_e32 v37, vcc_lo, s9, v1, vcc_lo
	v_lshlrev_b64 v[0:1], 4, v[104:105]
	v_add_co_u32 v16, vcc_lo, v36, v0
	s_delay_alu instid0(VALU_DEP_2)
	v_add_co_ci_u32_e32 v17, vcc_lo, v37, v1, vcc_lo
	ds_load_b128 v[0:3], v34
	ds_load_b128 v[4:7], v34 offset:1536
	ds_load_b128 v[8:11], v34 offset:3072
	;; [unrolled: 1-line block ×3, first 2 shown]
	v_add_co_u32 v18, vcc_lo, v36, v18
	v_add_co_ci_u32_e32 v19, vcc_lo, v37, v19, vcc_lo
	v_add_co_u32 v20, vcc_lo, v36, v20
	v_add_co_ci_u32_e32 v21, vcc_lo, v37, v21, vcc_lo
	;; [unrolled: 2-line block ×3, first 2 shown]
	s_waitcnt lgkmcnt(3)
	global_store_b128 v[16:17], v[0:3], off
	s_waitcnt lgkmcnt(2)
	global_store_b128 v[18:19], v[4:7], off
	;; [unrolled: 2-line block ×4, first 2 shown]
	v_lshlrev_b64 v[0:1], 4, v[24:25]
	v_dual_mov_b32 v9, v105 :: v_dual_add_nc_u32 v8, 0x1e0, v104
	v_dual_mov_b32 v11, v105 :: v_dual_add_nc_u32 v10, 0x240, v104
	;; [unrolled: 1-line block ×3, first 2 shown]
	s_delay_alu instid0(VALU_DEP_4)
	v_add_co_u32 v16, vcc_lo, v36, v0
	v_add_co_ci_u32_e32 v17, vcc_lo, v37, v1, vcc_lo
	ds_load_b128 v[0:3], v34 offset:6144
	ds_load_b128 v[4:7], v34 offset:7680
	v_lshlrev_b64 v[18:19], 4, v[8:9]
	v_lshlrev_b64 v[20:21], 4, v[10:11]
	ds_load_b128 v[8:11], v34 offset:9216
	ds_load_b128 v[12:15], v34 offset:10752
	v_lshlrev_b64 v[22:23], 4, v[22:23]
	v_add_nc_u32_e32 v24, 0x300, v104
	v_add_co_u32 v18, vcc_lo, v36, v18
	v_add_co_ci_u32_e32 v19, vcc_lo, v37, v19, vcc_lo
	v_add_co_u32 v20, vcc_lo, v36, v20
	v_add_co_ci_u32_e32 v21, vcc_lo, v37, v21, vcc_lo
	v_add_co_u32 v22, vcc_lo, v36, v22
	v_add_co_ci_u32_e32 v23, vcc_lo, v37, v23, vcc_lo
	s_waitcnt lgkmcnt(3)
	global_store_b128 v[16:17], v[0:3], off
	s_waitcnt lgkmcnt(2)
	global_store_b128 v[18:19], v[4:7], off
	s_waitcnt lgkmcnt(1)
	global_store_b128 v[20:21], v[8:11], off
	s_waitcnt lgkmcnt(0)
	global_store_b128 v[22:23], v[12:15], off
	v_mov_b32_e32 v9, v105
	v_lshlrev_b64 v[0:1], 4, v[24:25]
	v_dual_mov_b32 v11, v105 :: v_dual_add_nc_u32 v8, 0x360, v104
	v_dual_mov_b32 v23, v105 :: v_dual_add_nc_u32 v10, 0x3c0, v104
	v_add_nc_u32_e32 v22, 0x420, v104
	s_delay_alu instid0(VALU_DEP_4)
	v_add_co_u32 v16, vcc_lo, v36, v0
	v_add_co_ci_u32_e32 v17, vcc_lo, v37, v1, vcc_lo
	ds_load_b128 v[0:3], v34 offset:12288
	ds_load_b128 v[4:7], v34 offset:13824
	v_lshlrev_b64 v[18:19], 4, v[8:9]
	v_lshlrev_b64 v[20:21], 4, v[10:11]
	ds_load_b128 v[8:11], v34 offset:15360
	ds_load_b128 v[12:15], v34 offset:16896
	v_lshlrev_b64 v[22:23], 4, v[22:23]
	v_add_nc_u32_e32 v24, 0x480, v104
	v_add_co_u32 v18, vcc_lo, v36, v18
	v_add_co_ci_u32_e32 v19, vcc_lo, v37, v19, vcc_lo
	v_add_co_u32 v20, vcc_lo, v36, v20
	v_add_co_ci_u32_e32 v21, vcc_lo, v37, v21, vcc_lo
	v_add_co_u32 v22, vcc_lo, v36, v22
	v_add_co_ci_u32_e32 v23, vcc_lo, v37, v23, vcc_lo
	s_waitcnt lgkmcnt(3)
	global_store_b128 v[16:17], v[0:3], off
	s_waitcnt lgkmcnt(2)
	global_store_b128 v[18:19], v[4:7], off
	s_waitcnt lgkmcnt(1)
	global_store_b128 v[20:21], v[8:11], off
	s_waitcnt lgkmcnt(0)
	global_store_b128 v[22:23], v[12:15], off
	v_mov_b32_e32 v11, v105
	v_lshlrev_b64 v[0:1], 4, v[24:25]
	v_dual_mov_b32 v23, v105 :: v_dual_add_nc_u32 v8, 0x4e0, v104
	v_dual_mov_b32 v9, v105 :: v_dual_add_nc_u32 v10, 0x540, v104
	v_add_nc_u32_e32 v22, 0x5a0, v104
	;; [unrolled: 30-line block ×3, first 2 shown]
	s_delay_alu instid0(VALU_DEP_4)
	v_add_co_u32 v16, vcc_lo, v36, v0
	v_add_co_ci_u32_e32 v17, vcc_lo, v37, v1, vcc_lo
	ds_load_b128 v[0:3], v34 offset:24576
	ds_load_b128 v[4:7], v34 offset:26112
	v_lshlrev_b64 v[18:19], 4, v[8:9]
	v_lshlrev_b64 v[20:21], 4, v[10:11]
	ds_load_b128 v[8:11], v34 offset:27648
	ds_load_b128 v[12:15], v34 offset:29184
	v_lshlrev_b64 v[22:23], 4, v[22:23]
	v_add_nc_u32_e32 v24, 0x780, v104
	v_add_co_u32 v18, vcc_lo, v36, v18
	v_add_co_ci_u32_e32 v19, vcc_lo, v37, v19, vcc_lo
	v_add_co_u32 v20, vcc_lo, v36, v20
	v_add_co_ci_u32_e32 v21, vcc_lo, v37, v21, vcc_lo
	;; [unrolled: 2-line block ×3, first 2 shown]
	s_waitcnt lgkmcnt(3)
	global_store_b128 v[16:17], v[0:3], off
	s_waitcnt lgkmcnt(2)
	global_store_b128 v[18:19], v[4:7], off
	;; [unrolled: 2-line block ×4, first 2 shown]
	v_lshlrev_b64 v[0:1], 4, v[24:25]
	v_dual_mov_b32 v9, v105 :: v_dual_add_nc_u32 v8, 0x7e0, v104
	v_dual_mov_b32 v11, v105 :: v_dual_add_nc_u32 v10, 0x840, v104
	v_add_nc_u32_e32 v22, 0x8a0, v104
	s_delay_alu instid0(VALU_DEP_4)
	v_add_co_u32 v16, vcc_lo, v36, v0
	v_add_co_ci_u32_e32 v17, vcc_lo, v37, v1, vcc_lo
	ds_load_b128 v[0:3], v34 offset:30720
	ds_load_b128 v[4:7], v34 offset:32256
	v_lshlrev_b64 v[18:19], 4, v[8:9]
	v_lshlrev_b64 v[20:21], 4, v[10:11]
	ds_load_b128 v[8:11], v34 offset:33792
	ds_load_b128 v[12:15], v34 offset:35328
	v_dual_mov_b32 v23, v105 :: v_dual_add_nc_u32 v24, 0x900, v104
	v_add_co_u32 v18, vcc_lo, v36, v18
	v_add_co_ci_u32_e32 v19, vcc_lo, v37, v19, vcc_lo
	s_waitcnt lgkmcnt(3)
	global_store_b128 v[16:17], v[0:3], off
	s_waitcnt lgkmcnt(2)
	global_store_b128 v[18:19], v[4:7], off
	v_mov_b32_e32 v19, v105
	v_lshlrev_b64 v[22:23], 4, v[22:23]
	v_add_co_u32 v20, vcc_lo, v36, v20
	v_add_co_ci_u32_e32 v21, vcc_lo, v37, v21, vcc_lo
	v_add_nc_u32_e32 v2, 0x960, v104
	s_delay_alu instid0(VALU_DEP_4)
	v_add_co_u32 v22, vcc_lo, v36, v22
	v_mov_b32_e32 v3, v105
	v_add_co_ci_u32_e32 v23, vcc_lo, v37, v23, vcc_lo
	v_lshlrev_b64 v[0:1], 4, v[24:25]
	s_waitcnt lgkmcnt(1)
	global_store_b128 v[20:21], v[8:11], off
	s_waitcnt lgkmcnt(0)
	global_store_b128 v[22:23], v[12:15], off
	v_lshlrev_b64 v[8:9], 4, v[2:3]
	v_dual_mov_b32 v11, v105 :: v_dual_add_nc_u32 v10, 0x9c0, v104
	v_add_co_u32 v24, vcc_lo, v36, v0
	v_add_co_ci_u32_e32 v25, vcc_lo, v37, v1, vcc_lo
	s_delay_alu instid0(VALU_DEP_4)
	v_add_co_u32 v26, vcc_lo, v36, v8
	v_add_co_ci_u32_e32 v27, vcc_lo, v37, v9, vcc_lo
	v_lshlrev_b64 v[8:9], 4, v[10:11]
	v_dual_mov_b32 v17, v105 :: v_dual_add_nc_u32 v16, 0xa20, v104
	v_add_nc_u32_e32 v18, 0xa80, v104
	ds_load_b128 v[0:3], v34 offset:36864
	ds_load_b128 v[4:7], v34 offset:38400
	v_add_nc_u32_e32 v104, 0xae0, v104
	v_add_co_u32 v28, vcc_lo, v36, v8
	v_add_co_ci_u32_e32 v29, vcc_lo, v37, v9, vcc_lo
	ds_load_b128 v[8:11], v34 offset:39936
	ds_load_b128 v[12:15], v34 offset:41472
	v_lshlrev_b64 v[30:31], 4, v[16:17]
	v_lshlrev_b64 v[32:33], 4, v[18:19]
	ds_load_b128 v[16:19], v34 offset:43008
	ds_load_b128 v[20:23], v34 offset:44544
	v_lshlrev_b64 v[34:35], 4, v[104:105]
	v_add_co_u32 v30, vcc_lo, v36, v30
	v_add_co_ci_u32_e32 v31, vcc_lo, v37, v31, vcc_lo
	v_add_co_u32 v32, vcc_lo, v36, v32
	v_add_co_ci_u32_e32 v33, vcc_lo, v37, v33, vcc_lo
	;; [unrolled: 2-line block ×3, first 2 shown]
	s_waitcnt lgkmcnt(5)
	global_store_b128 v[24:25], v[0:3], off
	s_waitcnt lgkmcnt(4)
	global_store_b128 v[26:27], v[4:7], off
	s_waitcnt lgkmcnt(3)
	global_store_b128 v[28:29], v[8:11], off
	s_waitcnt lgkmcnt(2)
	global_store_b128 v[30:31], v[12:15], off
	s_waitcnt lgkmcnt(1)
	global_store_b128 v[32:33], v[16:19], off
	s_waitcnt lgkmcnt(0)
	global_store_b128 v[34:35], v[20:23], off
.LBB0_19:
	s_nop 0
	s_sendmsg sendmsg(MSG_DEALLOC_VGPRS)
	s_endpgm
	.section	.rodata,"a",@progbits
	.p2align	6, 0x0
	.amdhsa_kernel fft_rtc_fwd_len2880_factors_10_6_6_2_2_2_wgs_96_tpt_96_halfLds_dp_ip_CI_unitstride_sbrr_C2R_dirReg
		.amdhsa_group_segment_fixed_size 0
		.amdhsa_private_segment_fixed_size 84
		.amdhsa_kernarg_size 88
		.amdhsa_user_sgpr_count 15
		.amdhsa_user_sgpr_dispatch_ptr 0
		.amdhsa_user_sgpr_queue_ptr 0
		.amdhsa_user_sgpr_kernarg_segment_ptr 1
		.amdhsa_user_sgpr_dispatch_id 0
		.amdhsa_user_sgpr_private_segment_size 0
		.amdhsa_wavefront_size32 1
		.amdhsa_uses_dynamic_stack 0
		.amdhsa_enable_private_segment 1
		.amdhsa_system_sgpr_workgroup_id_x 1
		.amdhsa_system_sgpr_workgroup_id_y 0
		.amdhsa_system_sgpr_workgroup_id_z 0
		.amdhsa_system_sgpr_workgroup_info 0
		.amdhsa_system_vgpr_workitem_id 0
		.amdhsa_next_free_vgpr 256
		.amdhsa_next_free_sgpr 21
		.amdhsa_reserve_vcc 1
		.amdhsa_float_round_mode_32 0
		.amdhsa_float_round_mode_16_64 0
		.amdhsa_float_denorm_mode_32 3
		.amdhsa_float_denorm_mode_16_64 3
		.amdhsa_dx10_clamp 1
		.amdhsa_ieee_mode 1
		.amdhsa_fp16_overflow 0
		.amdhsa_workgroup_processor_mode 1
		.amdhsa_memory_ordered 1
		.amdhsa_forward_progress 0
		.amdhsa_shared_vgpr_count 0
		.amdhsa_exception_fp_ieee_invalid_op 0
		.amdhsa_exception_fp_denorm_src 0
		.amdhsa_exception_fp_ieee_div_zero 0
		.amdhsa_exception_fp_ieee_overflow 0
		.amdhsa_exception_fp_ieee_underflow 0
		.amdhsa_exception_fp_ieee_inexact 0
		.amdhsa_exception_int_div_zero 0
	.end_amdhsa_kernel
	.text
.Lfunc_end0:
	.size	fft_rtc_fwd_len2880_factors_10_6_6_2_2_2_wgs_96_tpt_96_halfLds_dp_ip_CI_unitstride_sbrr_C2R_dirReg, .Lfunc_end0-fft_rtc_fwd_len2880_factors_10_6_6_2_2_2_wgs_96_tpt_96_halfLds_dp_ip_CI_unitstride_sbrr_C2R_dirReg
                                        ; -- End function
	.section	.AMDGPU.csdata,"",@progbits
; Kernel info:
; codeLenInByte = 27356
; NumSgprs: 23
; NumVgprs: 256
; ScratchSize: 84
; MemoryBound: 0
; FloatMode: 240
; IeeeMode: 1
; LDSByteSize: 0 bytes/workgroup (compile time only)
; SGPRBlocks: 2
; VGPRBlocks: 31
; NumSGPRsForWavesPerEU: 23
; NumVGPRsForWavesPerEU: 256
; Occupancy: 5
; WaveLimiterHint : 1
; COMPUTE_PGM_RSRC2:SCRATCH_EN: 1
; COMPUTE_PGM_RSRC2:USER_SGPR: 15
; COMPUTE_PGM_RSRC2:TRAP_HANDLER: 0
; COMPUTE_PGM_RSRC2:TGID_X_EN: 1
; COMPUTE_PGM_RSRC2:TGID_Y_EN: 0
; COMPUTE_PGM_RSRC2:TGID_Z_EN: 0
; COMPUTE_PGM_RSRC2:TIDIG_COMP_CNT: 0
	.text
	.p2alignl 7, 3214868480
	.fill 96, 4, 3214868480
	.type	__hip_cuid_9e2b4e9e8f9a62e,@object ; @__hip_cuid_9e2b4e9e8f9a62e
	.section	.bss,"aw",@nobits
	.globl	__hip_cuid_9e2b4e9e8f9a62e
__hip_cuid_9e2b4e9e8f9a62e:
	.byte	0                               ; 0x0
	.size	__hip_cuid_9e2b4e9e8f9a62e, 1

	.ident	"AMD clang version 19.0.0git (https://github.com/RadeonOpenCompute/llvm-project roc-6.4.0 25133 c7fe45cf4b819c5991fe208aaa96edf142730f1d)"
	.section	".note.GNU-stack","",@progbits
	.addrsig
	.addrsig_sym __hip_cuid_9e2b4e9e8f9a62e
	.amdgpu_metadata
---
amdhsa.kernels:
  - .args:
      - .actual_access:  read_only
        .address_space:  global
        .offset:         0
        .size:           8
        .value_kind:     global_buffer
      - .offset:         8
        .size:           8
        .value_kind:     by_value
      - .actual_access:  read_only
        .address_space:  global
        .offset:         16
        .size:           8
        .value_kind:     global_buffer
      - .actual_access:  read_only
        .address_space:  global
        .offset:         24
        .size:           8
        .value_kind:     global_buffer
      - .offset:         32
        .size:           8
        .value_kind:     by_value
      - .actual_access:  read_only
        .address_space:  global
        .offset:         40
        .size:           8
        .value_kind:     global_buffer
      - .actual_access:  read_only
        .address_space:  global
        .offset:         48
        .size:           8
        .value_kind:     global_buffer
      - .offset:         56
        .size:           4
        .value_kind:     by_value
      - .actual_access:  read_only
        .address_space:  global
        .offset:         64
        .size:           8
        .value_kind:     global_buffer
      - .actual_access:  read_only
        .address_space:  global
        .offset:         72
        .size:           8
        .value_kind:     global_buffer
      - .address_space:  global
        .offset:         80
        .size:           8
        .value_kind:     global_buffer
    .group_segment_fixed_size: 0
    .kernarg_segment_align: 8
    .kernarg_segment_size: 88
    .language:       OpenCL C
    .language_version:
      - 2
      - 0
    .max_flat_workgroup_size: 96
    .name:           fft_rtc_fwd_len2880_factors_10_6_6_2_2_2_wgs_96_tpt_96_halfLds_dp_ip_CI_unitstride_sbrr_C2R_dirReg
    .private_segment_fixed_size: 84
    .sgpr_count:     23
    .sgpr_spill_count: 0
    .symbol:         fft_rtc_fwd_len2880_factors_10_6_6_2_2_2_wgs_96_tpt_96_halfLds_dp_ip_CI_unitstride_sbrr_C2R_dirReg.kd
    .uniform_work_group_size: 1
    .uses_dynamic_stack: false
    .vgpr_count:     256
    .vgpr_spill_count: 20
    .wavefront_size: 32
    .workgroup_processor_mode: 1
amdhsa.target:   amdgcn-amd-amdhsa--gfx1100
amdhsa.version:
  - 1
  - 2
...

	.end_amdgpu_metadata
